;; amdgpu-corpus repo=zjin-lcf/HeCBench kind=compiled arch=gfx1030 opt=O3
	.amdgcn_target "amdgcn-amd-amdhsa--gfx1030"
	.amdhsa_code_object_version 6
	.section	.text._Z17workloadDiagonalsIjEvPKT_jS2_jPj,"axG",@progbits,_Z17workloadDiagonalsIjEvPKT_jS2_jPj,comdat
	.protected	_Z17workloadDiagonalsIjEvPKT_jS2_jPj ; -- Begin function _Z17workloadDiagonalsIjEvPKT_jS2_jPj
	.globl	_Z17workloadDiagonalsIjEvPKT_jS2_jPj
	.p2align	8
	.type	_Z17workloadDiagonalsIjEvPKT_jS2_jPj,@function
_Z17workloadDiagonalsIjEvPKT_jS2_jPj:   ; @_Z17workloadDiagonalsIjEvPKT_jS2_jPj
; %bb.0:
	s_clause 0x4
	s_load_dwordx2 s[10:11], s[4:5], 0x0
	s_load_dword s21, s[4:5], 0x8
	s_load_dwordx2 s[12:13], s[4:5], 0x10
	s_load_dword s20, s[4:5], 0x18
	s_load_dwordx2 s[8:9], s[4:5], 0x20
	v_cmp_ne_u32_e64 s0, 0, v0
	s_mov_b32 s2, 0
	s_mov_b32 s1, exec_lo
	v_cmpx_eq_u32_e32 0, v0
	s_cbranch_execz .LBB0_5
; %bb.1:
	s_load_dword s7, s[4:5], 0x28
	s_waitcnt lgkmcnt(0)
	s_add_u32 s14, s20, s21
	s_addc_u32 s3, 0, 0
	s_mul_hi_u32 s15, s14, s6
	s_mul_i32 s3, s3, s6
	s_mul_i32 s14, s14, s6
	s_add_i32 s3, s15, s3
	s_cmp_lg_u64 s[2:3], 0
	s_cbranch_scc0 .LBB0_21
; %bb.2:
	v_cvt_f32_u32_e32 v1, s7
	s_sub_u32 s16, 0, s7
	s_subb_u32 s17, 0, 0
	v_fmamk_f32 v1, 0, 0x4f800000, v1
	v_rcp_f32_e32 v1, v1
	v_mul_f32_e32 v1, 0x5f7ffffc, v1
	v_mul_f32_e32 v2, 0x2f800000, v1
	v_trunc_f32_e32 v2, v2
	v_fmamk_f32 v1, v2, 0xcf800000, v1
	v_cvt_u32_f32_e32 v2, v2
	v_cvt_u32_f32_e32 v1, v1
	v_readfirstlane_b32 s2, v2
	v_readfirstlane_b32 s15, v1
	s_mul_i32 s18, s16, s2
	s_mul_hi_u32 s22, s16, s15
	s_mul_i32 s19, s17, s15
	s_add_i32 s18, s22, s18
	s_mul_i32 s23, s16, s15
	s_add_i32 s18, s18, s19
	s_mul_hi_u32 s22, s15, s23
	s_mul_i32 s25, s15, s18
	s_mul_hi_u32 s24, s2, s23
	s_mul_i32 s19, s2, s23
	s_mul_hi_u32 s23, s15, s18
	s_add_u32 s22, s22, s25
	s_addc_u32 s23, 0, s23
	s_mul_hi_u32 s26, s2, s18
	s_add_u32 s19, s22, s19
	s_mul_i32 s18, s2, s18
	s_addc_u32 s19, s23, s24
	s_addc_u32 s22, s26, 0
	s_add_u32 s18, s19, s18
	s_addc_u32 s19, 0, s22
	s_add_u32 s15, s15, s18
	s_cselect_b32 s18, -1, 0
	s_mul_hi_u32 s22, s16, s15
	s_cmp_lg_u32 s18, 0
	s_mul_i32 s18, s16, s15
	s_addc_u32 s2, s2, s19
	s_mul_i32 s17, s17, s15
	s_mul_i32 s16, s16, s2
	s_mul_hi_u32 s19, s15, s18
	s_add_i32 s16, s22, s16
	s_mul_hi_u32 s22, s2, s18
	s_add_i32 s16, s16, s17
	s_mul_i32 s17, s2, s18
	s_mul_i32 s24, s15, s16
	s_mul_hi_u32 s23, s15, s16
	s_add_u32 s19, s19, s24
	s_addc_u32 s23, 0, s23
	s_mul_hi_u32 s18, s2, s16
	s_add_u32 s17, s19, s17
	s_mul_i32 s16, s2, s16
	s_addc_u32 s17, s23, s22
	s_addc_u32 s18, s18, 0
	s_add_u32 s16, s17, s16
	s_addc_u32 s17, 0, s18
	s_add_u32 s15, s15, s16
	s_cselect_b32 s16, -1, 0
	s_mul_hi_u32 s18, s14, s15
	s_cmp_lg_u32 s16, 0
	s_mul_hi_u32 s16, s3, s15
	s_addc_u32 s2, s2, s17
	s_mul_i32 s15, s3, s15
	s_mul_i32 s19, s14, s2
	s_mul_hi_u32 s17, s14, s2
	s_add_u32 s18, s18, s19
	s_addc_u32 s17, 0, s17
	s_mul_hi_u32 s22, s3, s2
	s_add_u32 s15, s18, s15
	s_mul_i32 s2, s3, s2
	s_addc_u32 s15, s17, s16
	s_addc_u32 s16, s22, 0
	s_add_u32 s2, s15, s2
	s_addc_u32 s15, 0, s16
	s_mul_hi_u32 s18, s7, s2
	s_mul_i32 s15, s7, s15
	s_mul_i32 s19, s7, s2
	s_add_u32 s16, s2, 1
	s_add_u32 s17, s2, 2
	s_add_i32 s18, s18, s15
	s_sub_u32 s15, s14, s19
	s_cselect_b32 s19, -1, 0
	s_cmp_lg_u32 s19, 0
	s_subb_u32 s3, s3, s18
	s_sub_u32 s18, s15, s7
	s_cselect_b32 s19, -1, 0
	s_cmp_lg_u32 s19, 0
	s_subb_u32 s19, s3, 0
	s_cmp_ge_u32 s18, s7
	s_cselect_b32 s18, -1, 0
	s_cmp_eq_u32 s19, 0
	s_cselect_b32 s18, s18, -1
	s_cmp_lg_u32 s18, 0
	s_cselect_b32 s16, s17, s16
	s_cmp_ge_u32 s15, s7
	s_cselect_b32 s15, -1, 0
	s_cmp_eq_u32 s3, 0
	s_cselect_b32 s3, s15, -1
	s_cmp_lg_u32 s3, 0
	s_cselect_b32 s2, s16, s2
	s_cbranch_execnz .LBB0_4
.LBB0_3:
	v_cvt_f32_u32_e32 v1, s7
	s_sub_i32 s3, 0, s7
	v_rcp_iflag_f32_e32 v1, v1
	v_mul_f32_e32 v1, 0x4f7ffffe, v1
	v_cvt_u32_f32_e32 v1, v1
	v_readfirstlane_b32 s2, v1
	s_mul_i32 s3, s3, s2
	s_mul_hi_u32 s3, s2, s3
	s_add_i32 s2, s2, s3
	s_mul_hi_u32 s2, s14, s2
	s_mul_i32 s3, s2, s7
	s_sub_i32 s3, s14, s3
	s_add_i32 s14, s2, 1
	s_sub_i32 s15, s3, s7
	s_cmp_ge_u32 s3, s7
	s_cselect_b32 s2, s14, s2
	s_cselect_b32 s3, s15, s3
	s_add_i32 s14, s2, 1
	s_cmp_ge_u32 s3, s7
	s_cselect_b32 s2, s14, s2
.LBB0_4:
	s_mov_b64 s[14:15], src_shared_base
	s_movk_i32 s14, 0x84
	s_min_u32 s3, s21, s2
	v_mov_b32_e32 v1, s14
	v_mov_b32_e32 v2, s15
	s_movk_i32 s14, 0x88
	v_mov_b32_e32 v5, s3
	v_mov_b32_e32 v3, s14
	v_sub_nc_u32_e64 v6, s2, s21 clamp
	v_mov_b32_e32 v4, s15
	flat_store_dword v[1:2], v5
	s_waitcnt_vscnt null, 0x0
	flat_store_dword v[3:4], v6
	s_waitcnt_vscnt null, 0x0
	flat_load_dword v5, v[3:4] glc dlc
	s_waitcnt vmcnt(0)
	v_mov_b32_e32 v3, 0x8c
	v_mov_b32_e32 v4, s15
	s_waitcnt lgkmcnt(0)
	flat_store_dword v[3:4], v5
	s_waitcnt_vscnt null, 0x0
	flat_load_dword v1, v[1:2] glc dlc
	s_waitcnt vmcnt(0)
	v_mov_b32_e32 v3, 0x90
	s_waitcnt lgkmcnt(0)
	flat_store_dword v[3:4], v1
	s_waitcnt_vscnt null, 0x0
	v_mov_b32_e32 v3, 0x80
	v_mov_b32_e32 v1, 0
	flat_store_dword v[3:4], v1
	s_waitcnt_vscnt null, 0x0
.LBB0_5:
	s_or_b32 exec_lo, exec_lo, s1
	s_mov_b64 s[2:3], src_shared_base
	v_mov_b32_e32 v1, 0x80
	v_mov_b32_e32 v2, s3
	s_waitcnt lgkmcnt(0)
	s_barrier
	buffer_gl0_inv
	s_mov_b32 s1, exec_lo
	flat_load_dword v1, v[1:2] glc dlc
	s_waitcnt vmcnt(0) lgkmcnt(0)
	v_cmpx_ne_u32_e32 0, v1
	s_xor_b32 s1, exec_lo, s1
	s_or_saveexec_b32 s22, s1
	v_mov_b32_e32 v1, s6
	s_xor_b32 exec_lo, exec_lo, s22
	s_cbranch_execz .LBB0_18
; %bb.6:
	s_mov_b64 s[2:3], src_shared_base
	s_mov_b32 s15, 0
	v_lshlrev_b32_e32 v15, 2, v0
	s_movk_i32 s2, 0x84
	s_mov_b32 s7, s15
	v_mov_b32_e32 v1, s2
	s_lshl_b64 s[16:17], s[6:7], 2
	v_mov_b32_e32 v2, s3
	s_movk_i32 s2, 0x88
	v_mov_b32_e32 v6, s3
	v_add_nc_u32_e32 v16, -16, v0
	v_add_nc_u32_e32 v17, -4, v15
	s_add_u32 s16, s8, s16
	v_mov_b32_e32 v4, s3
	v_mov_b32_e32 v3, 0x8c
	;; [unrolled: 1-line block ×11, first 2 shown]
	s_addc_u32 s17, s9, s17
	s_add_u32 s18, s4, 40
	s_addc_u32 s19, s5, 0
	s_add_i32 s23, s6, 1
	s_mov_b32 s7, 0
	v_cmp_eq_u32_e32 vcc_lo, 16, v0
	s_branch .LBB0_8
.LBB0_7:                                ;   in Loop: Header=BB0_8 Depth=1
	s_or_b32 exec_lo, exec_lo, s2
	s_waitcnt lgkmcnt(0)
	s_barrier
	buffer_gl0_inv
	flat_load_dword v9, v[11:12] glc dlc
	s_waitcnt vmcnt(0) lgkmcnt(0)
	v_cmp_ne_u32_e64 s1, 0, v9
	s_or_b32 s7, s1, s7
	s_andn2_b32 exec_lo, exec_lo, s7
	s_cbranch_execz .LBB0_17
.LBB0_8:                                ; =>This Inner Loop Header: Depth=1
	flat_load_dword v9, v[1:2] glc dlc
	s_waitcnt vmcnt(0)
	flat_load_dword v13, v[1:2] glc dlc
	s_waitcnt vmcnt(0)
	;; [unrolled: 2-line block ×5, first 2 shown]
	flat_load_dword v23, v[5:6] glc dlc
	s_waitcnt vmcnt(0) lgkmcnt(3)
	v_sub_nc_u32_e32 v13, v13, v14
	s_waitcnt lgkmcnt(0)
	v_sub_nc_u32_e32 v14, v22, v23
	v_ashrrev_i32_e32 v13, 1, v13
	v_add_nc_u32_e32 v13, v0, v13
	v_sub_nc_u32_e32 v9, v9, v13
	v_ashrrev_i32_e32 v13, 1, v14
	v_mov_b32_e32 v14, 0
	v_add_nc_u32_e32 v9, 16, v9
	v_add3_u32 v13, v21, v16, v13
	v_cmp_gt_i32_e64 s1, s21, v9
	v_cmp_lt_i32_e64 s2, -1, v13
	s_and_b32 s1, s1, s2
	s_and_saveexec_b32 s14, s1
	s_cbranch_execz .LBB0_12
; %bb.9:                                ;   in Loop: Header=BB0_8 Depth=1
	v_cmp_gt_i32_e64 s1, s20, v13
	v_cmp_lt_i32_e64 s2, 0, v9
	v_mov_b32_e32 v14, 1
	s_and_b32 s1, s2, s1
	s_and_saveexec_b32 s2, s1
	s_cbranch_execz .LBB0_11
; %bb.10:                               ;   in Loop: Header=BB0_8 Depth=1
	v_mov_b32_e32 v14, v10
	v_lshlrev_b64 v[21:22], 2, v[9:10]
	v_lshlrev_b64 v[23:24], 2, v[13:14]
	v_add_co_u32 v21, s1, s10, v21
	v_add_co_ci_u32_e64 v22, null, s11, v22, s1
	v_add_co_u32 v23, s1, s12, v23
	v_add_co_ci_u32_e64 v24, null, s13, v24, s1
	global_load_dword v14, v[21:22], off offset:-4
	global_load_dword v21, v[23:24], off
	s_waitcnt vmcnt(0)
	v_cmp_le_u32_e64 s1, v14, v21
	v_cndmask_b32_e64 v14, 0, 1, s1
.LBB0_11:                               ;   in Loop: Header=BB0_8 Depth=1
	s_or_b32 exec_lo, exec_lo, s2
.LBB0_12:                               ;   in Loop: Header=BB0_8 Depth=1
	s_or_b32 exec_lo, exec_lo, s14
	ds_write_b32 v15, v14
	s_waitcnt lgkmcnt(0)
	s_barrier
	buffer_gl0_inv
	s_and_saveexec_b32 s2, s0
	s_cbranch_execz .LBB0_15
; %bb.13:                               ;   in Loop: Header=BB0_8 Depth=1
	ds_read2_b32 v[21:22], v17 offset1:1
	s_waitcnt lgkmcnt(0)
	v_cmp_ne_u32_e64 s1, v22, v21
	s_and_b32 exec_lo, exec_lo, s1
	s_cbranch_execz .LBB0_15
; %bb.14:                               ;   in Loop: Header=BB0_8 Depth=1
	flat_store_dword v[11:12], v18
	s_waitcnt_vscnt null, 0x0
	s_load_dword s1, s[18:19], 0x0
	s_waitcnt lgkmcnt(0)
	s_add_i32 s14, s23, s1
	s_lshl_b64 s[24:25], s[14:15], 2
	s_add_u32 s24, s8, s24
	s_addc_u32 s25, s9, s25
	global_store_dword v10, v9, s[16:17]
	global_store_dword v10, v13, s[24:25]
.LBB0_15:                               ;   in Loop: Header=BB0_8 Depth=1
	s_or_b32 exec_lo, exec_lo, s2
	s_waitcnt_vscnt null, 0x0
	s_barrier
	buffer_gl0_inv
	s_and_saveexec_b32 s2, vcc_lo
	s_cbranch_execz .LBB0_7
; %bb.16:                               ;   in Loop: Header=BB0_8 Depth=1
	ds_read_b32 v14, v10 offset:124
	v_mov_b32_e32 v22, s3
	v_mov_b32_e32 v24, s3
	s_waitcnt lgkmcnt(0)
	v_cmp_eq_u32_e64 s1, 0, v14
	v_cndmask_b32_e64 v21, 0x8c, v19, s1
	v_cndmask_b32_e64 v23, 0x90, v20, s1
	flat_store_dword v[21:22], v9
	s_waitcnt_vscnt null, 0x0
	flat_store_dword v[23:24], v13
	s_waitcnt_vscnt null, 0x0
	s_branch .LBB0_7
.LBB0_17:
	s_or_b32 exec_lo, exec_lo, s7
	v_mov_b32_e32 v1, s6
.LBB0_18:
	s_or_b32 exec_lo, exec_lo, s22
	v_or_b32_e32 v0, v0, v1
	s_mov_b32 s1, 0
	s_mov_b32 s0, exec_lo
	v_cmpx_eq_u32_e32 0, v0
	s_cbranch_execz .LBB0_20
; %bb.19:
	s_load_dword s0, s[4:5], 0x28
	s_mov_b32 s3, s1
	v_mov_b32_e32 v0, 0
	v_mov_b32_e32 v1, s21
	;; [unrolled: 1-line block ×3, first 2 shown]
	global_store_dword v0, v0, s[8:9]
	s_waitcnt lgkmcnt(0)
	s_add_i32 s2, s0, 1
	s_lshl_b64 s[2:3], s[2:3], 2
	s_add_u32 s2, s8, s2
	s_addc_u32 s3, s9, s3
	s_lshl_b64 s[4:5], s[0:1], 2
	global_store_dword v0, v0, s[2:3]
	s_add_u32 s4, s8, s4
	s_addc_u32 s5, s9, s5
	s_lshl_b32 s0, s0, 1
	s_lshl_b64 s[0:1], s[0:1], 2
	s_add_u32 s0, s8, s0
	s_addc_u32 s1, s9, s1
	global_store_dword v0, v1, s[4:5]
	global_store_dword v0, v2, s[0:1] offset:4
.LBB0_20:
	s_endpgm
.LBB0_21:
                                        ; implicit-def: $sgpr2_sgpr3
	s_branch .LBB0_3
	.section	.rodata,"a",@progbits
	.p2align	6, 0x0
	.amdhsa_kernel _Z17workloadDiagonalsIjEvPKT_jS2_jPj
		.amdhsa_group_segment_fixed_size 148
		.amdhsa_private_segment_fixed_size 0
		.amdhsa_kernarg_size 296
		.amdhsa_user_sgpr_count 6
		.amdhsa_user_sgpr_private_segment_buffer 1
		.amdhsa_user_sgpr_dispatch_ptr 0
		.amdhsa_user_sgpr_queue_ptr 0
		.amdhsa_user_sgpr_kernarg_segment_ptr 1
		.amdhsa_user_sgpr_dispatch_id 0
		.amdhsa_user_sgpr_flat_scratch_init 0
		.amdhsa_user_sgpr_private_segment_size 0
		.amdhsa_wavefront_size32 1
		.amdhsa_uses_dynamic_stack 0
		.amdhsa_system_sgpr_private_segment_wavefront_offset 0
		.amdhsa_system_sgpr_workgroup_id_x 1
		.amdhsa_system_sgpr_workgroup_id_y 0
		.amdhsa_system_sgpr_workgroup_id_z 0
		.amdhsa_system_sgpr_workgroup_info 0
		.amdhsa_system_vgpr_workitem_id 0
		.amdhsa_next_free_vgpr 25
		.amdhsa_next_free_sgpr 27
		.amdhsa_reserve_vcc 1
		.amdhsa_reserve_flat_scratch 0
		.amdhsa_float_round_mode_32 0
		.amdhsa_float_round_mode_16_64 0
		.amdhsa_float_denorm_mode_32 3
		.amdhsa_float_denorm_mode_16_64 3
		.amdhsa_dx10_clamp 1
		.amdhsa_ieee_mode 1
		.amdhsa_fp16_overflow 0
		.amdhsa_workgroup_processor_mode 1
		.amdhsa_memory_ordered 1
		.amdhsa_forward_progress 1
		.amdhsa_shared_vgpr_count 0
		.amdhsa_exception_fp_ieee_invalid_op 0
		.amdhsa_exception_fp_denorm_src 0
		.amdhsa_exception_fp_ieee_div_zero 0
		.amdhsa_exception_fp_ieee_overflow 0
		.amdhsa_exception_fp_ieee_underflow 0
		.amdhsa_exception_fp_ieee_inexact 0
		.amdhsa_exception_int_div_zero 0
	.end_amdhsa_kernel
	.section	.text._Z17workloadDiagonalsIjEvPKT_jS2_jPj,"axG",@progbits,_Z17workloadDiagonalsIjEvPKT_jS2_jPj,comdat
.Lfunc_end0:
	.size	_Z17workloadDiagonalsIjEvPKT_jS2_jPj, .Lfunc_end0-_Z17workloadDiagonalsIjEvPKT_jS2_jPj
                                        ; -- End function
	.set _Z17workloadDiagonalsIjEvPKT_jS2_jPj.num_vgpr, 25
	.set _Z17workloadDiagonalsIjEvPKT_jS2_jPj.num_agpr, 0
	.set _Z17workloadDiagonalsIjEvPKT_jS2_jPj.numbered_sgpr, 27
	.set _Z17workloadDiagonalsIjEvPKT_jS2_jPj.num_named_barrier, 0
	.set _Z17workloadDiagonalsIjEvPKT_jS2_jPj.private_seg_size, 0
	.set _Z17workloadDiagonalsIjEvPKT_jS2_jPj.uses_vcc, 1
	.set _Z17workloadDiagonalsIjEvPKT_jS2_jPj.uses_flat_scratch, 0
	.set _Z17workloadDiagonalsIjEvPKT_jS2_jPj.has_dyn_sized_stack, 0
	.set _Z17workloadDiagonalsIjEvPKT_jS2_jPj.has_recursion, 0
	.set _Z17workloadDiagonalsIjEvPKT_jS2_jPj.has_indirect_call, 0
	.section	.AMDGPU.csdata,"",@progbits
; Kernel info:
; codeLenInByte = 1700
; TotalNumSgprs: 29
; NumVgprs: 25
; ScratchSize: 0
; MemoryBound: 0
; FloatMode: 240
; IeeeMode: 1
; LDSByteSize: 148 bytes/workgroup (compile time only)
; SGPRBlocks: 0
; VGPRBlocks: 3
; NumSGPRsForWavesPerEU: 29
; NumVGPRsForWavesPerEU: 25
; Occupancy: 16
; WaveLimiterHint : 1
; COMPUTE_PGM_RSRC2:SCRATCH_EN: 0
; COMPUTE_PGM_RSRC2:USER_SGPR: 6
; COMPUTE_PGM_RSRC2:TRAP_HANDLER: 0
; COMPUTE_PGM_RSRC2:TGID_X_EN: 1
; COMPUTE_PGM_RSRC2:TGID_Y_EN: 0
; COMPUTE_PGM_RSRC2:TGID_Z_EN: 0
; COMPUTE_PGM_RSRC2:TIDIG_COMP_CNT: 0
	.section	.text._Z15mergeSinglePathIjLb0ELb0EEvPKT_jS2_jPKjPS0_j,"axG",@progbits,_Z15mergeSinglePathIjLb0ELb0EEvPKT_jS2_jPKjPS0_j,comdat
	.protected	_Z15mergeSinglePathIjLb0ELb0EEvPKT_jS2_jPKjPS0_j ; -- Begin function _Z15mergeSinglePathIjLb0ELb0EEvPKT_jS2_jPKjPS0_j
	.globl	_Z15mergeSinglePathIjLb0ELb0EEvPKT_jS2_jPKjPS0_j
	.p2align	8
	.type	_Z15mergeSinglePathIjLb0ELb0EEvPKT_jS2_jPKjPS0_j,@function
_Z15mergeSinglePathIjLb0ELb0EEvPKT_jS2_jPKjPS0_j: ; @_Z15mergeSinglePathIjLb0ELb0EEvPKT_jS2_jPKjPS0_j
; %bb.0:
	s_clause 0x2
	s_load_dwordx2 s[10:11], s[4:5], 0x0
	s_load_dwordx2 s[8:9], s[4:5], 0x10
	s_load_dwordx4 s[0:3], s[4:5], 0x20
	v_alignbit_b32 v1, v0, v0, 5
	s_mov_b32 s7, exec_lo
	v_cmpx_lt_i32_e32 1, v1
	s_xor_b32 s7, exec_lo, s7
	s_cbranch_execz .LBB1_8
; %bb.1:
	s_mov_b32 s12, exec_lo
	v_cmpx_lt_i32_e32 2, v1
	s_xor_b32 s12, exec_lo, s12
	s_cbranch_execz .LBB1_5
; %bb.2:
	s_mov_b32 s13, exec_lo
	v_cmpx_eq_u32_e32 3, v1
	s_cbranch_execz .LBB1_4
; %bb.3:
	s_mov_b64 s[14:15], src_shared_base
	s_load_dword s14, s[4:5], 0x38
	s_mov_b32 s17, 0
	v_mov_b32_e32 v1, 0x101c
	v_mov_b32_e32 v3, -1
	v_mov_b32_e32 v2, s15
	v_mov_b32_e32 v5, 0
	s_waitcnt lgkmcnt(0)
	s_add_i32 s14, s6, s14
	s_add_i32 s16, s14, 2
	s_lshl_b64 s[16:17], s[16:17], 2
	s_add_u32 s16, s0, s16
	s_addc_u32 s17, s1, s17
	s_load_dword s14, s[16:17], 0x0
	s_waitcnt lgkmcnt(0)
	v_mov_b32_e32 v4, s14
	flat_store_dword v[1:2], v4
	s_waitcnt_vscnt null, 0x0
	ds_write_b32 v5, v3 offset:4108
.LBB1_4:
	s_or_b32 exec_lo, exec_lo, s13
.LBB1_5:
	s_andn2_saveexec_b32 s12, s12
	s_cbranch_execz .LBB1_7
; %bb.6:
	s_load_dword s13, s[4:5], 0x38
	s_mov_b32 s17, 0
	s_mov_b64 s[14:15], src_shared_base
	v_mov_b32_e32 v1, 0x1014
	v_mov_b32_e32 v3, -1
	v_mov_b32_e32 v2, s15
	v_mov_b32_e32 v5, 0
	s_waitcnt lgkmcnt(0)
	s_add_i32 s13, s6, s13
	s_add_i32 s16, s13, 1
	s_lshl_b64 s[16:17], s[16:17], 2
	s_add_u32 s16, s0, s16
	s_addc_u32 s17, s1, s17
	s_load_dword s13, s[16:17], 0x0
	s_waitcnt lgkmcnt(0)
	v_mov_b32_e32 v4, s13
	flat_store_dword v[1:2], v4
	s_waitcnt_vscnt null, 0x0
	ds_write_b32 v5, v3 offset:2052
.LBB1_7:
	s_or_b32 exec_lo, exec_lo, s12
                                        ; implicit-def: $vgpr1
.LBB1_8:
	s_andn2_saveexec_b32 s14, s7
	s_cbranch_execz .LBB1_16
; %bb.9:
	s_mov_b32 s13, 0
	s_mov_b32 s7, exec_lo
	v_cmpx_lt_i32_e32 0, v1
	s_xor_b32 s7, exec_lo, s7
	s_cbranch_execz .LBB1_11
; %bb.10:
	s_add_i32 s12, s6, 1
	s_mov_b64 s[16:17], src_shared_base
	s_lshl_b64 s[12:13], s[12:13], 2
	v_mov_b32_e32 v1, 0x1018
	s_waitcnt lgkmcnt(0)
	s_add_u32 s12, s0, s12
	s_addc_u32 s13, s1, s13
	v_mov_b32_e32 v2, s17
	s_load_dword s12, s[12:13], 0x0
	v_mov_b32_e32 v4, 0
	s_waitcnt lgkmcnt(0)
	v_mov_b32_e32 v3, s12
	flat_store_dword v[1:2], v3
	s_waitcnt_vscnt null, 0x0
	ds_write_b32 v4, v4 offset:2056
                                        ; implicit-def: $vgpr1
.LBB1_11:
	s_andn2_saveexec_b32 s12, s7
	s_cbranch_execz .LBB1_15
; %bb.12:
	s_mov_b32 s7, 0
	s_mov_b32 s13, exec_lo
	v_cmpx_eq_u32_e32 0, v1
	s_cbranch_execz .LBB1_14
; %bb.13:
	s_lshl_b64 s[6:7], s[6:7], 2
	s_mov_b64 s[16:17], src_shared_base
	s_waitcnt lgkmcnt(0)
	s_add_u32 s0, s0, s6
	s_addc_u32 s1, s1, s7
	v_mov_b32_e32 v1, 0x1010
	s_load_dword s0, s[0:1], 0x0
	v_mov_b32_e32 v2, s17
	v_mov_b32_e32 v4, 0
	s_waitcnt lgkmcnt(0)
	v_mov_b32_e32 v3, s0
	flat_store_dword v[1:2], v3
	s_waitcnt_vscnt null, 0x0
	ds_write_b32 v4, v4
.LBB1_14:
	s_or_b32 exec_lo, exec_lo, s13
.LBB1_15:
	s_or_b32 exec_lo, exec_lo, s12
.LBB1_16:
	s_or_b32 exec_lo, exec_lo, s14
	v_lshlrev_b32_e32 v13, 2, v0
	v_lshlrev_b32_e32 v14, 1, v0
	s_mov_b64 s[6:7], src_shared_base
	v_mov_b32_e32 v1, 0
	v_mov_b32_e32 v3, s7
	s_waitcnt lgkmcnt(0)
	v_add_co_u32 v18, s0, s10, v13
	v_add_co_ci_u32_e64 v19, null, s11, 0, s0
	v_add_co_u32 v20, s0, s8, v13
	v_or_b32_e32 v15, 2, v13
	v_or_b32_e32 v16, 1, v14
	v_mad_u32_u24 v17, v0, 12, v13
	v_add_co_ci_u32_e64 v21, null, s9, 0, s0
	v_mov_b32_e32 v4, 0x1010
	v_mov_b32_e32 v5, s7
	;; [unrolled: 1-line block ×4, first 2 shown]
	v_lshlrev_b32_e32 v22, 2, v13
	v_mov_b32_e32 v2, 0x1014
	v_mov_b32_e32 v8, 0x101c
	s_add_u32 s4, s4, 56
	s_addc_u32 s5, s5, 0
	s_mov_b32 s1, 0
	s_movk_i32 s6, 0x1010
	s_movk_i32 s8, 0x1014
	s_barrier
	v_cmp_eq_u32_e32 vcc_lo, 0x7f, v0
	buffer_gl0_inv
	s_branch .LBB1_19
.LBB1_17:                               ;   in Loop: Header=BB1_19 Depth=1
	s_or_b32 exec_lo, exec_lo, s0
	s_xor_b32 s0, exec_lo, -1
	s_waitcnt lgkmcnt(0)
	s_waitcnt_vscnt null, 0x0
	s_barrier
	buffer_gl0_inv
.LBB1_18:                               ;   in Loop: Header=BB1_19 Depth=1
	s_or_b32 exec_lo, exec_lo, s10
	s_and_b32 s0, exec_lo, s0
	s_or_b32 s1, s0, s1
	s_andn2_b32 exec_lo, exec_lo, s1
	s_cbranch_execz .LBB1_43
.LBB1_19:                               ; =>This Loop Header: Depth=1
                                        ;     Child Loop BB1_24 Depth 2
	flat_load_dword v0, v[4:5] glc dlc
	s_waitcnt vmcnt(0)
	flat_load_dword v9, v[6:7] glc dlc
	s_waitcnt vmcnt(0)
	s_mov_b32 s11, -1
	s_mov_b32 s9, exec_lo
	s_waitcnt lgkmcnt(0)
	v_cmpx_ge_u32_e64 v0, v9
	s_cbranch_execz .LBB1_21
; %bb.20:                               ;   in Loop: Header=BB1_19 Depth=1
	v_mov_b32_e32 v9, v3
	flat_load_dword v0, v[2:3] glc dlc
	s_waitcnt vmcnt(0)
	flat_load_dword v9, v[8:9] glc dlc
	s_waitcnt vmcnt(0) lgkmcnt(0)
	v_cmp_lt_u32_e64 s0, v0, v9
	s_orn2_b32 s11, s0, exec_lo
.LBB1_21:                               ;   in Loop: Header=BB1_19 Depth=1
	s_or_b32 exec_lo, exec_lo, s9
	s_mov_b32 s0, -1
	s_and_saveexec_b32 s10, s11
	s_cbranch_execz .LBB1_18
; %bb.22:                               ;   in Loop: Header=BB1_19 Depth=1
	s_mov_b32 s9, s7
	v_mov_b32_e32 v10, s7
	v_mov_b32_e32 v9, s6
	;; [unrolled: 1-line block ×5, first 2 shown]
	s_mov_b32 s11, 0
	flat_load_dword v0, v[9:10] glc dlc
	s_waitcnt vmcnt(0)
	flat_load_dword v23, v[11:12] glc dlc
	s_waitcnt vmcnt(0)
	s_load_dword s0, s[4:5], 0xc
                                        ; implicit-def: $sgpr12
	s_waitcnt lgkmcnt(0)
	s_and_b32 s0, s0, 0xffff
	s_lshl_b32 s9, s0, 2
	v_lshlrev_b64 v[25:26], 2, v[0:1]
	v_lshlrev_b64 v[23:24], 2, v[23:24]
	v_add_co_u32 v25, s0, v18, v25
	v_add_co_ci_u32_e64 v26, null, v19, v26, s0
	v_add_co_u32 v23, s0, v20, v23
	v_add_co_ci_u32_e64 v24, null, v21, v24, s0
	global_load_dword v0, v[25:26], off
	v_add_co_u32 v25, s0, v25, s9
	v_add_co_ci_u32_e64 v26, null, 0, v26, s0
	global_load_dword v33, v[23:24], off
	v_add_co_u32 v23, s0, v23, s9
	v_add_co_ci_u32_e64 v24, null, 0, v24, s0
	global_load_dword v34, v[25:26], off
	v_add_co_u32 v25, s0, v25, s9
	v_add_co_ci_u32_e64 v26, null, 0, v26, s0
	v_add_co_u32 v27, s0, v23, s9
	v_add_co_ci_u32_e64 v28, null, 0, v24, s0
	v_add_co_u32 v29, s0, v25, s9
	v_add_co_ci_u32_e64 v30, null, 0, v26, s0
	v_add_co_u32 v31, s0, v27, s9
	v_add_co_ci_u32_e64 v32, null, 0, v28, s0
	global_load_dword v23, v[23:24], off
	global_load_dword v24, v[25:26], off
	;; [unrolled: 1-line block ×5, first 2 shown]
	v_add_nc_u32_e32 v28, s9, v13
	v_add_nc_u32_e32 v29, s9, v28
	;; [unrolled: 1-line block ×3, first 2 shown]
	s_mov_b32 s9, 0
	s_waitcnt vmcnt(7)
	ds_write_b32 v13, v0 offset:4
	s_waitcnt vmcnt(6)
	ds_write_b32 v13, v33 offset:2060
	s_waitcnt vmcnt(5)
	ds_write_b32 v28, v34 offset:4
	s_waitcnt vmcnt(4)
	ds_write_b32 v28, v23 offset:2060
	s_waitcnt vmcnt(3)
	ds_write_b32 v29, v24 offset:4
	s_waitcnt vmcnt(2)
	ds_write_b32 v29, v25 offset:2060
	s_waitcnt vmcnt(1)
	ds_write_b32 v30, v26 offset:4
	s_waitcnt vmcnt(0)
	ds_write_b32 v30, v27 offset:2060
	flat_load_dword v0, v[9:10] glc dlc
	s_waitcnt vmcnt(0)
	flat_load_dword v9, v[11:12] glc dlc
	s_waitcnt vmcnt(0)
	v_mov_b32_e32 v12, v14
	v_mov_b32_e32 v24, v16
	s_waitcnt lgkmcnt(0)
	s_barrier
	buffer_gl0_inv
	s_inst_prefetch 0x1
	s_branch .LBB1_24
	.p2align	6
.LBB1_23:                               ;   in Loop: Header=BB1_24 Depth=2
	s_or_b32 exec_lo, exec_lo, s12
	s_and_b32 s0, exec_lo, s11
	s_mov_b32 s11, 0
	s_or_b32 s9, s0, s9
                                        ; implicit-def: $sgpr12
	s_andn2_b32 exec_lo, exec_lo, s9
	s_cbranch_execz .LBB1_29
.LBB1_24:                               ;   Parent Loop BB1_19 Depth=1
                                        ; =>  This Inner Loop Header: Depth=2
	v_mov_b32_e32 v10, v24
	v_add_nc_u32_e32 v12, 1, v12
	s_or_b32 s12, s12, exec_lo
	v_not_b32_e32 v11, v10
	v_lshlrev_b32_e32 v23, 2, v10
	v_lshrrev_b32_e32 v12, 1, v12
	v_lshl_add_u32 v25, v11, 2, v17
	ds_read_b32 v11, v23
	ds_read_b32 v24, v25 offset:2064
	s_waitcnt lgkmcnt(0)
	v_cmp_le_u32_e64 s0, v11, v24
                                        ; implicit-def: $vgpr24
	s_and_saveexec_b32 s13, s0
; %bb.25:                               ;   in Loop: Header=BB1_24 Depth=2
	v_add_nc_u32_e32 v24, v12, v10
	s_andn2_b32 s12, s12, exec_lo
; %bb.26:                               ;   in Loop: Header=BB1_24 Depth=2
	s_or_b32 exec_lo, exec_lo, s13
	s_and_b32 s0, exec_lo, s12
	s_or_b32 s11, s0, s11
	s_andn2_b32 exec_lo, exec_lo, s11
	s_cbranch_execnz .LBB1_24
; %bb.27:                               ;   in Loop: Header=BB1_24 Depth=2
	s_or_b32 exec_lo, exec_lo, s11
	v_add_nc_u32_e32 v24, -4, v23
	s_mov_b32 s11, -1
	ds_read_b32 v24, v24
	ds_read_b32 v25, v25 offset:2068
	s_waitcnt lgkmcnt(0)
	v_cmp_gt_u32_e64 s0, v24, v25
                                        ; implicit-def: $vgpr24
	s_and_saveexec_b32 s12, s0
	s_cbranch_execz .LBB1_23
; %bb.28:                               ;   in Loop: Header=BB1_24 Depth=2
	v_sub_nc_u32_e32 v24, v10, v12
	s_xor_b32 s11, exec_lo, -1
	s_branch .LBB1_23
.LBB1_29:                               ;   in Loop: Header=BB1_19 Depth=1
	s_inst_prefetch 0x2
	s_or_b32 exec_lo, exec_lo, s9
	v_sub_nc_u32_e32 v12, v13, v10
                                        ; implicit-def: $vgpr24
	v_lshlrev_b32_e32 v27, 2, v12
                                        ; implicit-def: $vgpr12
	ds_read_b32 v26, v27 offset:2064
	s_waitcnt lgkmcnt(0)
	v_cmp_le_u32_e64 s0, v11, v26
	s_and_saveexec_b32 s9, s0
	s_xor_b32 s0, exec_lo, s9
; %bb.30:                               ;   in Loop: Header=BB1_19 Depth=1
	ds_read_b32 v12, v23 offset:4
	v_add_nc_u32_e32 v24, 1, v10
                                        ; implicit-def: $vgpr27
; %bb.31:                               ;   in Loop: Header=BB1_19 Depth=1
	s_or_saveexec_b32 s0, s0
	v_sub_nc_u32_e32 v23, v15, v10
	v_mov_b32_e32 v25, v26
	s_xor_b32 exec_lo, exec_lo, s0
	s_cbranch_execz .LBB1_33
; %bb.32:                               ;   in Loop: Header=BB1_19 Depth=1
	ds_read_b32 v25, v27 offset:2068
	v_add_nc_u32_e32 v23, 1, v23
	v_mov_b32_e32 v24, v10
	s_waitcnt lgkmcnt(1)
	v_mov_b32_e32 v12, v11
	v_mov_b32_e32 v11, v26
.LBB1_33:                               ;   in Loop: Header=BB1_19 Depth=1
	s_or_b32 exec_lo, exec_lo, s0
	v_mov_b32_e32 v10, v1
	v_lshlrev_b64 v[26:27], 2, v[0:1]
	v_lshlrev_b64 v[9:10], 2, v[9:10]
	v_add_co_u32 v0, s0, s2, v26
	v_add_co_ci_u32_e64 v26, null, s3, v27, s0
	v_add_co_u32 v0, s0, v0, v9
	v_add_co_ci_u32_e64 v10, null, v26, v10, s0
	;; [unrolled: 2-line block ×3, first 2 shown]
	s_waitcnt lgkmcnt(0)
	v_cmp_le_u32_e64 s0, v12, v25
                                        ; implicit-def: $vgpr0
	global_store_dword v[9:10], v11, off
                                        ; implicit-def: $vgpr11
	s_and_saveexec_b32 s9, s0
	s_xor_b32 s0, exec_lo, s9
; %bb.34:                               ;   in Loop: Header=BB1_19 Depth=1
	v_lshlrev_b32_e32 v0, 2, v24
	ds_read_b32 v11, v0 offset:4
	v_add_nc_u32_e32 v0, 1, v24
                                        ; implicit-def: $vgpr24
; %bb.35:                               ;   in Loop: Header=BB1_19 Depth=1
	s_or_saveexec_b32 s0, s0
	v_mov_b32_e32 v26, v25
	s_xor_b32 exec_lo, exec_lo, s0
	s_cbranch_execz .LBB1_37
; %bb.36:                               ;   in Loop: Header=BB1_19 Depth=1
	v_lshlrev_b32_e32 v0, 2, v23
	v_add_nc_u32_e32 v23, 1, v23
	s_waitcnt lgkmcnt(0)
	v_mov_b32_e32 v11, v12
	v_mov_b32_e32 v12, v25
	ds_read_b32 v26, v0 offset:2060
	v_mov_b32_e32 v0, v24
.LBB1_37:                               ;   in Loop: Header=BB1_19 Depth=1
	s_or_b32 exec_lo, exec_lo, s0
	s_waitcnt lgkmcnt(0)
	v_cmp_le_u32_e64 s0, v11, v26
	global_store_dword v[9:10], v12, off offset:4
                                        ; implicit-def: $vgpr12
	s_and_saveexec_b32 s9, s0
	s_xor_b32 s0, exec_lo, s9
; %bb.38:                               ;   in Loop: Header=BB1_19 Depth=1
	v_lshlrev_b32_e32 v12, 2, v0
	v_add_nc_u32_e32 v23, -1, v23
	ds_read_b32 v12, v12 offset:4
; %bb.39:                               ;   in Loop: Header=BB1_19 Depth=1
	s_or_saveexec_b32 s0, s0
	v_mov_b32_e32 v24, v26
	s_xor_b32 exec_lo, exec_lo, s0
	s_cbranch_execz .LBB1_41
; %bb.40:                               ;   in Loop: Header=BB1_19 Depth=1
	s_waitcnt lgkmcnt(0)
	v_lshlrev_b32_e32 v12, 2, v23
	v_add_nc_u32_e32 v0, -1, v0
	ds_read_b32 v24, v12 offset:2060
	v_mov_b32_e32 v12, v11
	v_mov_b32_e32 v11, v26
.LBB1_41:                               ;   in Loop: Header=BB1_19 Depth=1
	s_or_b32 exec_lo, exec_lo, s0
	s_waitcnt lgkmcnt(0)
	v_min_u32_e32 v12, v12, v24
	global_store_dwordx2 v[9:10], v[11:12], off offset:8
	s_and_saveexec_b32 s0, vcc_lo
	s_cbranch_execz .LBB1_17
; %bb.42:                               ;   in Loop: Header=BB1_19 Depth=1
	v_mov_b32_e32 v10, s7
	v_mov_b32_e32 v9, s6
	s_mov_b32 s9, s7
	flat_load_dword v11, v[9:10] glc dlc
	s_waitcnt vmcnt(0) lgkmcnt(0)
	v_add_nc_u32_e32 v0, v11, v0
	v_mov_b32_e32 v12, s9
	v_mov_b32_e32 v11, s8
	flat_store_dword v[9:10], v0
	s_waitcnt_vscnt null, 0x0
	flat_load_dword v0, v[11:12] glc dlc
	s_waitcnt vmcnt(0) lgkmcnt(0)
	v_add_nc_u32_e32 v0, v0, v23
	flat_store_dword v[11:12], v0
	s_waitcnt_vscnt null, 0x0
	s_branch .LBB1_17
.LBB1_43:
	s_endpgm
	.section	.rodata,"a",@progbits
	.p2align	6, 0x0
	.amdhsa_kernel _Z15mergeSinglePathIjLb0ELb0EEvPKT_jS2_jPKjPS0_j
		.amdhsa_group_segment_fixed_size 4128
		.amdhsa_private_segment_fixed_size 0
		.amdhsa_kernarg_size 312
		.amdhsa_user_sgpr_count 6
		.amdhsa_user_sgpr_private_segment_buffer 1
		.amdhsa_user_sgpr_dispatch_ptr 0
		.amdhsa_user_sgpr_queue_ptr 0
		.amdhsa_user_sgpr_kernarg_segment_ptr 1
		.amdhsa_user_sgpr_dispatch_id 0
		.amdhsa_user_sgpr_flat_scratch_init 0
		.amdhsa_user_sgpr_private_segment_size 0
		.amdhsa_wavefront_size32 1
		.amdhsa_uses_dynamic_stack 0
		.amdhsa_system_sgpr_private_segment_wavefront_offset 0
		.amdhsa_system_sgpr_workgroup_id_x 1
		.amdhsa_system_sgpr_workgroup_id_y 0
		.amdhsa_system_sgpr_workgroup_id_z 0
		.amdhsa_system_sgpr_workgroup_info 0
		.amdhsa_system_vgpr_workitem_id 0
		.amdhsa_next_free_vgpr 35
		.amdhsa_next_free_sgpr 18
		.amdhsa_reserve_vcc 1
		.amdhsa_reserve_flat_scratch 0
		.amdhsa_float_round_mode_32 0
		.amdhsa_float_round_mode_16_64 0
		.amdhsa_float_denorm_mode_32 3
		.amdhsa_float_denorm_mode_16_64 3
		.amdhsa_dx10_clamp 1
		.amdhsa_ieee_mode 1
		.amdhsa_fp16_overflow 0
		.amdhsa_workgroup_processor_mode 1
		.amdhsa_memory_ordered 1
		.amdhsa_forward_progress 1
		.amdhsa_shared_vgpr_count 0
		.amdhsa_exception_fp_ieee_invalid_op 0
		.amdhsa_exception_fp_denorm_src 0
		.amdhsa_exception_fp_ieee_div_zero 0
		.amdhsa_exception_fp_ieee_overflow 0
		.amdhsa_exception_fp_ieee_underflow 0
		.amdhsa_exception_fp_ieee_inexact 0
		.amdhsa_exception_int_div_zero 0
	.end_amdhsa_kernel
	.section	.text._Z15mergeSinglePathIjLb0ELb0EEvPKT_jS2_jPKjPS0_j,"axG",@progbits,_Z15mergeSinglePathIjLb0ELb0EEvPKT_jS2_jPKjPS0_j,comdat
.Lfunc_end1:
	.size	_Z15mergeSinglePathIjLb0ELb0EEvPKT_jS2_jPKjPS0_j, .Lfunc_end1-_Z15mergeSinglePathIjLb0ELb0EEvPKT_jS2_jPKjPS0_j
                                        ; -- End function
	.set _Z15mergeSinglePathIjLb0ELb0EEvPKT_jS2_jPKjPS0_j.num_vgpr, 35
	.set _Z15mergeSinglePathIjLb0ELb0EEvPKT_jS2_jPKjPS0_j.num_agpr, 0
	.set _Z15mergeSinglePathIjLb0ELb0EEvPKT_jS2_jPKjPS0_j.numbered_sgpr, 18
	.set _Z15mergeSinglePathIjLb0ELb0EEvPKT_jS2_jPKjPS0_j.num_named_barrier, 0
	.set _Z15mergeSinglePathIjLb0ELb0EEvPKT_jS2_jPKjPS0_j.private_seg_size, 0
	.set _Z15mergeSinglePathIjLb0ELb0EEvPKT_jS2_jPKjPS0_j.uses_vcc, 1
	.set _Z15mergeSinglePathIjLb0ELb0EEvPKT_jS2_jPKjPS0_j.uses_flat_scratch, 0
	.set _Z15mergeSinglePathIjLb0ELb0EEvPKT_jS2_jPKjPS0_j.has_dyn_sized_stack, 0
	.set _Z15mergeSinglePathIjLb0ELb0EEvPKT_jS2_jPKjPS0_j.has_recursion, 0
	.set _Z15mergeSinglePathIjLb0ELb0EEvPKT_jS2_jPKjPS0_j.has_indirect_call, 0
	.section	.AMDGPU.csdata,"",@progbits
; Kernel info:
; codeLenInByte = 1928
; TotalNumSgprs: 20
; NumVgprs: 35
; ScratchSize: 0
; MemoryBound: 0
; FloatMode: 240
; IeeeMode: 1
; LDSByteSize: 4128 bytes/workgroup (compile time only)
; SGPRBlocks: 0
; VGPRBlocks: 4
; NumSGPRsForWavesPerEU: 20
; NumVGPRsForWavesPerEU: 35
; Occupancy: 16
; WaveLimiterHint : 1
; COMPUTE_PGM_RSRC2:SCRATCH_EN: 0
; COMPUTE_PGM_RSRC2:USER_SGPR: 6
; COMPUTE_PGM_RSRC2:TRAP_HANDLER: 0
; COMPUTE_PGM_RSRC2:TGID_X_EN: 1
; COMPUTE_PGM_RSRC2:TGID_Y_EN: 0
; COMPUTE_PGM_RSRC2:TGID_Z_EN: 0
; COMPUTE_PGM_RSRC2:TIDIG_COMP_CNT: 0
	.section	.text._Z17workloadDiagonalsIfEvPKT_jS2_jPj,"axG",@progbits,_Z17workloadDiagonalsIfEvPKT_jS2_jPj,comdat
	.protected	_Z17workloadDiagonalsIfEvPKT_jS2_jPj ; -- Begin function _Z17workloadDiagonalsIfEvPKT_jS2_jPj
	.globl	_Z17workloadDiagonalsIfEvPKT_jS2_jPj
	.p2align	8
	.type	_Z17workloadDiagonalsIfEvPKT_jS2_jPj,@function
_Z17workloadDiagonalsIfEvPKT_jS2_jPj:   ; @_Z17workloadDiagonalsIfEvPKT_jS2_jPj
; %bb.0:
	s_clause 0x4
	s_load_dwordx2 s[10:11], s[4:5], 0x0
	s_load_dword s21, s[4:5], 0x8
	s_load_dwordx2 s[12:13], s[4:5], 0x10
	s_load_dword s20, s[4:5], 0x18
	s_load_dwordx2 s[8:9], s[4:5], 0x20
	v_cmp_ne_u32_e64 s0, 0, v0
	s_mov_b32 s2, 0
	s_mov_b32 s1, exec_lo
	v_cmpx_eq_u32_e32 0, v0
	s_cbranch_execz .LBB2_5
; %bb.1:
	s_load_dword s7, s[4:5], 0x28
	s_waitcnt lgkmcnt(0)
	s_add_u32 s14, s20, s21
	s_addc_u32 s3, 0, 0
	s_mul_hi_u32 s15, s14, s6
	s_mul_i32 s3, s3, s6
	s_mul_i32 s14, s14, s6
	s_add_i32 s3, s15, s3
	s_cmp_lg_u64 s[2:3], 0
	s_cbranch_scc0 .LBB2_21
; %bb.2:
	v_cvt_f32_u32_e32 v1, s7
	s_sub_u32 s16, 0, s7
	s_subb_u32 s17, 0, 0
	v_fmamk_f32 v1, 0, 0x4f800000, v1
	v_rcp_f32_e32 v1, v1
	v_mul_f32_e32 v1, 0x5f7ffffc, v1
	v_mul_f32_e32 v2, 0x2f800000, v1
	v_trunc_f32_e32 v2, v2
	v_fmamk_f32 v1, v2, 0xcf800000, v1
	v_cvt_u32_f32_e32 v2, v2
	v_cvt_u32_f32_e32 v1, v1
	v_readfirstlane_b32 s2, v2
	v_readfirstlane_b32 s15, v1
	s_mul_i32 s18, s16, s2
	s_mul_hi_u32 s22, s16, s15
	s_mul_i32 s19, s17, s15
	s_add_i32 s18, s22, s18
	s_mul_i32 s23, s16, s15
	s_add_i32 s18, s18, s19
	s_mul_hi_u32 s22, s15, s23
	s_mul_i32 s25, s15, s18
	s_mul_hi_u32 s24, s2, s23
	s_mul_i32 s19, s2, s23
	s_mul_hi_u32 s23, s15, s18
	s_add_u32 s22, s22, s25
	s_addc_u32 s23, 0, s23
	s_mul_hi_u32 s26, s2, s18
	s_add_u32 s19, s22, s19
	s_mul_i32 s18, s2, s18
	s_addc_u32 s19, s23, s24
	s_addc_u32 s22, s26, 0
	s_add_u32 s18, s19, s18
	s_addc_u32 s19, 0, s22
	s_add_u32 s15, s15, s18
	s_cselect_b32 s18, -1, 0
	s_mul_hi_u32 s22, s16, s15
	s_cmp_lg_u32 s18, 0
	s_mul_i32 s18, s16, s15
	s_addc_u32 s2, s2, s19
	s_mul_i32 s17, s17, s15
	s_mul_i32 s16, s16, s2
	s_mul_hi_u32 s19, s15, s18
	s_add_i32 s16, s22, s16
	s_mul_hi_u32 s22, s2, s18
	s_add_i32 s16, s16, s17
	s_mul_i32 s17, s2, s18
	s_mul_i32 s24, s15, s16
	s_mul_hi_u32 s23, s15, s16
	s_add_u32 s19, s19, s24
	s_addc_u32 s23, 0, s23
	s_mul_hi_u32 s18, s2, s16
	s_add_u32 s17, s19, s17
	s_mul_i32 s16, s2, s16
	s_addc_u32 s17, s23, s22
	s_addc_u32 s18, s18, 0
	s_add_u32 s16, s17, s16
	s_addc_u32 s17, 0, s18
	s_add_u32 s15, s15, s16
	s_cselect_b32 s16, -1, 0
	s_mul_hi_u32 s18, s14, s15
	s_cmp_lg_u32 s16, 0
	s_mul_hi_u32 s16, s3, s15
	s_addc_u32 s2, s2, s17
	s_mul_i32 s15, s3, s15
	s_mul_i32 s19, s14, s2
	s_mul_hi_u32 s17, s14, s2
	s_add_u32 s18, s18, s19
	s_addc_u32 s17, 0, s17
	s_mul_hi_u32 s22, s3, s2
	s_add_u32 s15, s18, s15
	s_mul_i32 s2, s3, s2
	s_addc_u32 s15, s17, s16
	s_addc_u32 s16, s22, 0
	s_add_u32 s2, s15, s2
	s_addc_u32 s15, 0, s16
	s_mul_hi_u32 s18, s7, s2
	s_mul_i32 s15, s7, s15
	s_mul_i32 s19, s7, s2
	s_add_u32 s16, s2, 1
	s_add_u32 s17, s2, 2
	s_add_i32 s18, s18, s15
	s_sub_u32 s15, s14, s19
	s_cselect_b32 s19, -1, 0
	s_cmp_lg_u32 s19, 0
	s_subb_u32 s3, s3, s18
	s_sub_u32 s18, s15, s7
	s_cselect_b32 s19, -1, 0
	s_cmp_lg_u32 s19, 0
	s_subb_u32 s19, s3, 0
	s_cmp_ge_u32 s18, s7
	s_cselect_b32 s18, -1, 0
	s_cmp_eq_u32 s19, 0
	s_cselect_b32 s18, s18, -1
	s_cmp_lg_u32 s18, 0
	s_cselect_b32 s16, s17, s16
	s_cmp_ge_u32 s15, s7
	s_cselect_b32 s15, -1, 0
	s_cmp_eq_u32 s3, 0
	s_cselect_b32 s3, s15, -1
	s_cmp_lg_u32 s3, 0
	s_cselect_b32 s2, s16, s2
	s_cbranch_execnz .LBB2_4
.LBB2_3:
	v_cvt_f32_u32_e32 v1, s7
	s_sub_i32 s3, 0, s7
	v_rcp_iflag_f32_e32 v1, v1
	v_mul_f32_e32 v1, 0x4f7ffffe, v1
	v_cvt_u32_f32_e32 v1, v1
	v_readfirstlane_b32 s2, v1
	s_mul_i32 s3, s3, s2
	s_mul_hi_u32 s3, s2, s3
	s_add_i32 s2, s2, s3
	s_mul_hi_u32 s2, s14, s2
	s_mul_i32 s3, s2, s7
	s_sub_i32 s3, s14, s3
	s_add_i32 s14, s2, 1
	s_sub_i32 s15, s3, s7
	s_cmp_ge_u32 s3, s7
	s_cselect_b32 s2, s14, s2
	s_cselect_b32 s3, s15, s3
	s_add_i32 s14, s2, 1
	s_cmp_ge_u32 s3, s7
	s_cselect_b32 s2, s14, s2
.LBB2_4:
	s_mov_b64 s[14:15], src_shared_base
	s_movk_i32 s14, 0x84
	s_min_u32 s3, s21, s2
	v_mov_b32_e32 v1, s14
	v_mov_b32_e32 v2, s15
	s_movk_i32 s14, 0x88
	v_mov_b32_e32 v5, s3
	v_mov_b32_e32 v3, s14
	v_sub_nc_u32_e64 v6, s2, s21 clamp
	v_mov_b32_e32 v4, s15
	flat_store_dword v[1:2], v5
	s_waitcnt_vscnt null, 0x0
	flat_store_dword v[3:4], v6
	s_waitcnt_vscnt null, 0x0
	flat_load_dword v5, v[3:4] glc dlc
	s_waitcnt vmcnt(0)
	v_mov_b32_e32 v3, 0x8c
	v_mov_b32_e32 v4, s15
	s_waitcnt lgkmcnt(0)
	flat_store_dword v[3:4], v5
	s_waitcnt_vscnt null, 0x0
	flat_load_dword v1, v[1:2] glc dlc
	s_waitcnt vmcnt(0)
	v_mov_b32_e32 v3, 0x90
	s_waitcnt lgkmcnt(0)
	flat_store_dword v[3:4], v1
	s_waitcnt_vscnt null, 0x0
	v_mov_b32_e32 v3, 0x80
	v_mov_b32_e32 v1, 0
	flat_store_dword v[3:4], v1
	s_waitcnt_vscnt null, 0x0
.LBB2_5:
	s_or_b32 exec_lo, exec_lo, s1
	s_mov_b64 s[2:3], src_shared_base
	v_mov_b32_e32 v1, 0x80
	v_mov_b32_e32 v2, s3
	s_waitcnt lgkmcnt(0)
	s_barrier
	buffer_gl0_inv
	s_mov_b32 s1, exec_lo
	flat_load_dword v1, v[1:2] glc dlc
	s_waitcnt vmcnt(0) lgkmcnt(0)
	v_cmpx_ne_u32_e32 0, v1
	s_xor_b32 s1, exec_lo, s1
	s_or_saveexec_b32 s22, s1
	v_mov_b32_e32 v1, s6
	s_xor_b32 exec_lo, exec_lo, s22
	s_cbranch_execz .LBB2_18
; %bb.6:
	s_mov_b64 s[2:3], src_shared_base
	s_mov_b32 s15, 0
	v_lshlrev_b32_e32 v15, 2, v0
	s_movk_i32 s2, 0x84
	s_mov_b32 s7, s15
	v_mov_b32_e32 v1, s2
	s_lshl_b64 s[16:17], s[6:7], 2
	v_mov_b32_e32 v2, s3
	s_movk_i32 s2, 0x88
	v_mov_b32_e32 v6, s3
	v_add_nc_u32_e32 v16, -16, v0
	v_add_nc_u32_e32 v17, -4, v15
	s_add_u32 s16, s8, s16
	v_mov_b32_e32 v4, s3
	v_mov_b32_e32 v3, 0x8c
	;; [unrolled: 1-line block ×11, first 2 shown]
	s_addc_u32 s17, s9, s17
	s_add_u32 s18, s4, 40
	s_addc_u32 s19, s5, 0
	s_add_i32 s23, s6, 1
	s_mov_b32 s7, 0
	v_cmp_eq_u32_e32 vcc_lo, 16, v0
	s_branch .LBB2_8
.LBB2_7:                                ;   in Loop: Header=BB2_8 Depth=1
	s_or_b32 exec_lo, exec_lo, s2
	s_waitcnt lgkmcnt(0)
	s_barrier
	buffer_gl0_inv
	flat_load_dword v9, v[11:12] glc dlc
	s_waitcnt vmcnt(0) lgkmcnt(0)
	v_cmp_ne_u32_e64 s1, 0, v9
	s_or_b32 s7, s1, s7
	s_andn2_b32 exec_lo, exec_lo, s7
	s_cbranch_execz .LBB2_17
.LBB2_8:                                ; =>This Inner Loop Header: Depth=1
	flat_load_dword v9, v[1:2] glc dlc
	s_waitcnt vmcnt(0)
	flat_load_dword v13, v[1:2] glc dlc
	s_waitcnt vmcnt(0)
	;; [unrolled: 2-line block ×5, first 2 shown]
	flat_load_dword v23, v[5:6] glc dlc
	s_waitcnt vmcnt(0) lgkmcnt(3)
	v_sub_nc_u32_e32 v13, v13, v14
	s_waitcnt lgkmcnt(0)
	v_sub_nc_u32_e32 v14, v22, v23
	v_ashrrev_i32_e32 v13, 1, v13
	v_add_nc_u32_e32 v13, v0, v13
	v_sub_nc_u32_e32 v9, v9, v13
	v_ashrrev_i32_e32 v13, 1, v14
	v_mov_b32_e32 v14, 0
	v_add_nc_u32_e32 v9, 16, v9
	v_add3_u32 v13, v21, v16, v13
	v_cmp_gt_i32_e64 s1, s21, v9
	v_cmp_lt_i32_e64 s2, -1, v13
	s_and_b32 s1, s1, s2
	s_and_saveexec_b32 s14, s1
	s_cbranch_execz .LBB2_12
; %bb.9:                                ;   in Loop: Header=BB2_8 Depth=1
	v_cmp_gt_i32_e64 s1, s20, v13
	v_cmp_lt_i32_e64 s2, 0, v9
	v_mov_b32_e32 v14, 1
	s_and_b32 s1, s2, s1
	s_and_saveexec_b32 s2, s1
	s_cbranch_execz .LBB2_11
; %bb.10:                               ;   in Loop: Header=BB2_8 Depth=1
	v_mov_b32_e32 v14, v10
	v_lshlrev_b64 v[21:22], 2, v[9:10]
	v_lshlrev_b64 v[23:24], 2, v[13:14]
	v_add_co_u32 v21, s1, s10, v21
	v_add_co_ci_u32_e64 v22, null, s11, v22, s1
	v_add_co_u32 v23, s1, s12, v23
	v_add_co_ci_u32_e64 v24, null, s13, v24, s1
	global_load_dword v14, v[21:22], off offset:-4
	global_load_dword v21, v[23:24], off
	s_waitcnt vmcnt(0)
	v_cmp_le_f32_e64 s1, v14, v21
	v_cndmask_b32_e64 v14, 0, 1, s1
.LBB2_11:                               ;   in Loop: Header=BB2_8 Depth=1
	s_or_b32 exec_lo, exec_lo, s2
.LBB2_12:                               ;   in Loop: Header=BB2_8 Depth=1
	s_or_b32 exec_lo, exec_lo, s14
	ds_write_b32 v15, v14
	s_waitcnt lgkmcnt(0)
	s_barrier
	buffer_gl0_inv
	s_and_saveexec_b32 s2, s0
	s_cbranch_execz .LBB2_15
; %bb.13:                               ;   in Loop: Header=BB2_8 Depth=1
	ds_read2_b32 v[21:22], v17 offset1:1
	s_waitcnt lgkmcnt(0)
	v_cmp_ne_u32_e64 s1, v22, v21
	s_and_b32 exec_lo, exec_lo, s1
	s_cbranch_execz .LBB2_15
; %bb.14:                               ;   in Loop: Header=BB2_8 Depth=1
	flat_store_dword v[11:12], v18
	s_waitcnt_vscnt null, 0x0
	s_load_dword s1, s[18:19], 0x0
	s_waitcnt lgkmcnt(0)
	s_add_i32 s14, s23, s1
	s_lshl_b64 s[24:25], s[14:15], 2
	s_add_u32 s24, s8, s24
	s_addc_u32 s25, s9, s25
	global_store_dword v10, v9, s[16:17]
	global_store_dword v10, v13, s[24:25]
.LBB2_15:                               ;   in Loop: Header=BB2_8 Depth=1
	s_or_b32 exec_lo, exec_lo, s2
	s_waitcnt_vscnt null, 0x0
	s_barrier
	buffer_gl0_inv
	s_and_saveexec_b32 s2, vcc_lo
	s_cbranch_execz .LBB2_7
; %bb.16:                               ;   in Loop: Header=BB2_8 Depth=1
	ds_read_b32 v14, v10 offset:124
	v_mov_b32_e32 v22, s3
	v_mov_b32_e32 v24, s3
	s_waitcnt lgkmcnt(0)
	v_cmp_eq_u32_e64 s1, 0, v14
	v_cndmask_b32_e64 v21, 0x8c, v19, s1
	v_cndmask_b32_e64 v23, 0x90, v20, s1
	flat_store_dword v[21:22], v9
	s_waitcnt_vscnt null, 0x0
	flat_store_dword v[23:24], v13
	s_waitcnt_vscnt null, 0x0
	s_branch .LBB2_7
.LBB2_17:
	s_or_b32 exec_lo, exec_lo, s7
	v_mov_b32_e32 v1, s6
.LBB2_18:
	s_or_b32 exec_lo, exec_lo, s22
	v_or_b32_e32 v0, v0, v1
	s_mov_b32 s1, 0
	s_mov_b32 s0, exec_lo
	v_cmpx_eq_u32_e32 0, v0
	s_cbranch_execz .LBB2_20
; %bb.19:
	s_load_dword s0, s[4:5], 0x28
	s_mov_b32 s3, s1
	v_mov_b32_e32 v0, 0
	v_mov_b32_e32 v1, s21
	;; [unrolled: 1-line block ×3, first 2 shown]
	global_store_dword v0, v0, s[8:9]
	s_waitcnt lgkmcnt(0)
	s_add_i32 s2, s0, 1
	s_lshl_b64 s[2:3], s[2:3], 2
	s_add_u32 s2, s8, s2
	s_addc_u32 s3, s9, s3
	s_lshl_b64 s[4:5], s[0:1], 2
	global_store_dword v0, v0, s[2:3]
	s_add_u32 s4, s8, s4
	s_addc_u32 s5, s9, s5
	s_lshl_b32 s0, s0, 1
	s_lshl_b64 s[0:1], s[0:1], 2
	s_add_u32 s0, s8, s0
	s_addc_u32 s1, s9, s1
	global_store_dword v0, v1, s[4:5]
	global_store_dword v0, v2, s[0:1] offset:4
.LBB2_20:
	s_endpgm
.LBB2_21:
                                        ; implicit-def: $sgpr2_sgpr3
	s_branch .LBB2_3
	.section	.rodata,"a",@progbits
	.p2align	6, 0x0
	.amdhsa_kernel _Z17workloadDiagonalsIfEvPKT_jS2_jPj
		.amdhsa_group_segment_fixed_size 148
		.amdhsa_private_segment_fixed_size 0
		.amdhsa_kernarg_size 296
		.amdhsa_user_sgpr_count 6
		.amdhsa_user_sgpr_private_segment_buffer 1
		.amdhsa_user_sgpr_dispatch_ptr 0
		.amdhsa_user_sgpr_queue_ptr 0
		.amdhsa_user_sgpr_kernarg_segment_ptr 1
		.amdhsa_user_sgpr_dispatch_id 0
		.amdhsa_user_sgpr_flat_scratch_init 0
		.amdhsa_user_sgpr_private_segment_size 0
		.amdhsa_wavefront_size32 1
		.amdhsa_uses_dynamic_stack 0
		.amdhsa_system_sgpr_private_segment_wavefront_offset 0
		.amdhsa_system_sgpr_workgroup_id_x 1
		.amdhsa_system_sgpr_workgroup_id_y 0
		.amdhsa_system_sgpr_workgroup_id_z 0
		.amdhsa_system_sgpr_workgroup_info 0
		.amdhsa_system_vgpr_workitem_id 0
		.amdhsa_next_free_vgpr 25
		.amdhsa_next_free_sgpr 27
		.amdhsa_reserve_vcc 1
		.amdhsa_reserve_flat_scratch 0
		.amdhsa_float_round_mode_32 0
		.amdhsa_float_round_mode_16_64 0
		.amdhsa_float_denorm_mode_32 3
		.amdhsa_float_denorm_mode_16_64 3
		.amdhsa_dx10_clamp 1
		.amdhsa_ieee_mode 1
		.amdhsa_fp16_overflow 0
		.amdhsa_workgroup_processor_mode 1
		.amdhsa_memory_ordered 1
		.amdhsa_forward_progress 1
		.amdhsa_shared_vgpr_count 0
		.amdhsa_exception_fp_ieee_invalid_op 0
		.amdhsa_exception_fp_denorm_src 0
		.amdhsa_exception_fp_ieee_div_zero 0
		.amdhsa_exception_fp_ieee_overflow 0
		.amdhsa_exception_fp_ieee_underflow 0
		.amdhsa_exception_fp_ieee_inexact 0
		.amdhsa_exception_int_div_zero 0
	.end_amdhsa_kernel
	.section	.text._Z17workloadDiagonalsIfEvPKT_jS2_jPj,"axG",@progbits,_Z17workloadDiagonalsIfEvPKT_jS2_jPj,comdat
.Lfunc_end2:
	.size	_Z17workloadDiagonalsIfEvPKT_jS2_jPj, .Lfunc_end2-_Z17workloadDiagonalsIfEvPKT_jS2_jPj
                                        ; -- End function
	.set _Z17workloadDiagonalsIfEvPKT_jS2_jPj.num_vgpr, 25
	.set _Z17workloadDiagonalsIfEvPKT_jS2_jPj.num_agpr, 0
	.set _Z17workloadDiagonalsIfEvPKT_jS2_jPj.numbered_sgpr, 27
	.set _Z17workloadDiagonalsIfEvPKT_jS2_jPj.num_named_barrier, 0
	.set _Z17workloadDiagonalsIfEvPKT_jS2_jPj.private_seg_size, 0
	.set _Z17workloadDiagonalsIfEvPKT_jS2_jPj.uses_vcc, 1
	.set _Z17workloadDiagonalsIfEvPKT_jS2_jPj.uses_flat_scratch, 0
	.set _Z17workloadDiagonalsIfEvPKT_jS2_jPj.has_dyn_sized_stack, 0
	.set _Z17workloadDiagonalsIfEvPKT_jS2_jPj.has_recursion, 0
	.set _Z17workloadDiagonalsIfEvPKT_jS2_jPj.has_indirect_call, 0
	.section	.AMDGPU.csdata,"",@progbits
; Kernel info:
; codeLenInByte = 1700
; TotalNumSgprs: 29
; NumVgprs: 25
; ScratchSize: 0
; MemoryBound: 0
; FloatMode: 240
; IeeeMode: 1
; LDSByteSize: 148 bytes/workgroup (compile time only)
; SGPRBlocks: 0
; VGPRBlocks: 3
; NumSGPRsForWavesPerEU: 29
; NumVGPRsForWavesPerEU: 25
; Occupancy: 16
; WaveLimiterHint : 1
; COMPUTE_PGM_RSRC2:SCRATCH_EN: 0
; COMPUTE_PGM_RSRC2:USER_SGPR: 6
; COMPUTE_PGM_RSRC2:TRAP_HANDLER: 0
; COMPUTE_PGM_RSRC2:TGID_X_EN: 1
; COMPUTE_PGM_RSRC2:TGID_Y_EN: 0
; COMPUTE_PGM_RSRC2:TGID_Z_EN: 0
; COMPUTE_PGM_RSRC2:TIDIG_COMP_CNT: 0
	.section	.text._Z15mergeSinglePathIfLb0ELb0EEvPKT_jS2_jPKjPS0_j,"axG",@progbits,_Z15mergeSinglePathIfLb0ELb0EEvPKT_jS2_jPKjPS0_j,comdat
	.protected	_Z15mergeSinglePathIfLb0ELb0EEvPKT_jS2_jPKjPS0_j ; -- Begin function _Z15mergeSinglePathIfLb0ELb0EEvPKT_jS2_jPKjPS0_j
	.globl	_Z15mergeSinglePathIfLb0ELb0EEvPKT_jS2_jPKjPS0_j
	.p2align	8
	.type	_Z15mergeSinglePathIfLb0ELb0EEvPKT_jS2_jPKjPS0_j,@function
_Z15mergeSinglePathIfLb0ELb0EEvPKT_jS2_jPKjPS0_j: ; @_Z15mergeSinglePathIfLb0ELb0EEvPKT_jS2_jPKjPS0_j
; %bb.0:
	s_clause 0x2
	s_load_dwordx2 s[10:11], s[4:5], 0x0
	s_load_dwordx2 s[8:9], s[4:5], 0x10
	s_load_dwordx4 s[0:3], s[4:5], 0x20
	v_alignbit_b32 v1, v0, v0, 5
	s_mov_b32 s7, exec_lo
	v_cmpx_lt_i32_e32 1, v1
	s_xor_b32 s7, exec_lo, s7
	s_cbranch_execz .LBB3_8
; %bb.1:
	s_mov_b32 s12, exec_lo
	v_cmpx_lt_i32_e32 2, v1
	s_xor_b32 s12, exec_lo, s12
	s_cbranch_execz .LBB3_5
; %bb.2:
	s_mov_b32 s13, exec_lo
	v_cmpx_eq_u32_e32 3, v1
	s_cbranch_execz .LBB3_4
; %bb.3:
	s_mov_b64 s[14:15], src_shared_base
	s_load_dword s14, s[4:5], 0x38
	s_mov_b32 s17, 0
	v_mov_b32_e32 v1, 0x101c
	v_mov_b32_e32 v3, 0x7f7fffff
	;; [unrolled: 1-line block ×4, first 2 shown]
	s_waitcnt lgkmcnt(0)
	s_add_i32 s14, s6, s14
	s_add_i32 s16, s14, 2
	s_lshl_b64 s[16:17], s[16:17], 2
	s_add_u32 s16, s0, s16
	s_addc_u32 s17, s1, s17
	s_load_dword s14, s[16:17], 0x0
	s_waitcnt lgkmcnt(0)
	v_mov_b32_e32 v4, s14
	flat_store_dword v[1:2], v4
	s_waitcnt_vscnt null, 0x0
	ds_write_b32 v5, v3 offset:4108
.LBB3_4:
	s_or_b32 exec_lo, exec_lo, s13
.LBB3_5:
	s_andn2_saveexec_b32 s12, s12
	s_cbranch_execz .LBB3_7
; %bb.6:
	s_load_dword s13, s[4:5], 0x38
	s_mov_b32 s17, 0
	s_mov_b64 s[14:15], src_shared_base
	v_mov_b32_e32 v1, 0x1014
	v_mov_b32_e32 v3, 0x7f7fffff
	;; [unrolled: 1-line block ×4, first 2 shown]
	s_waitcnt lgkmcnt(0)
	s_add_i32 s13, s6, s13
	s_add_i32 s16, s13, 1
	s_lshl_b64 s[16:17], s[16:17], 2
	s_add_u32 s16, s0, s16
	s_addc_u32 s17, s1, s17
	s_load_dword s13, s[16:17], 0x0
	s_waitcnt lgkmcnt(0)
	v_mov_b32_e32 v4, s13
	flat_store_dword v[1:2], v4
	s_waitcnt_vscnt null, 0x0
	ds_write_b32 v5, v3 offset:2052
.LBB3_7:
	s_or_b32 exec_lo, exec_lo, s12
                                        ; implicit-def: $vgpr1
.LBB3_8:
	s_andn2_saveexec_b32 s14, s7
	s_cbranch_execz .LBB3_16
; %bb.9:
	s_mov_b32 s13, 0
	s_mov_b32 s7, exec_lo
	v_cmpx_lt_i32_e32 0, v1
	s_xor_b32 s7, exec_lo, s7
	s_cbranch_execz .LBB3_11
; %bb.10:
	s_add_i32 s12, s6, 1
	s_mov_b64 s[16:17], src_shared_base
	s_lshl_b64 s[12:13], s[12:13], 2
	v_mov_b32_e32 v1, 0x1018
	s_waitcnt lgkmcnt(0)
	s_add_u32 s12, s0, s12
	s_addc_u32 s13, s1, s13
	v_mov_b32_e32 v3, 0x800000
	s_load_dword s12, s[12:13], 0x0
	v_mov_b32_e32 v2, s17
	v_mov_b32_e32 v5, 0
	s_waitcnt lgkmcnt(0)
	v_mov_b32_e32 v4, s12
	flat_store_dword v[1:2], v4
	s_waitcnt_vscnt null, 0x0
	ds_write_b32 v5, v3 offset:2056
                                        ; implicit-def: $vgpr1
.LBB3_11:
	s_andn2_saveexec_b32 s12, s7
	s_cbranch_execz .LBB3_15
; %bb.12:
	s_mov_b32 s7, 0
	s_mov_b32 s13, exec_lo
	v_cmpx_eq_u32_e32 0, v1
	s_cbranch_execz .LBB3_14
; %bb.13:
	s_lshl_b64 s[6:7], s[6:7], 2
	s_mov_b64 s[16:17], src_shared_base
	s_waitcnt lgkmcnt(0)
	s_add_u32 s0, s0, s6
	s_addc_u32 s1, s1, s7
	v_mov_b32_e32 v1, 0x1010
	s_load_dword s0, s[0:1], 0x0
	v_mov_b32_e32 v3, 0x800000
	v_mov_b32_e32 v2, s17
	;; [unrolled: 1-line block ×3, first 2 shown]
	s_waitcnt lgkmcnt(0)
	v_mov_b32_e32 v4, s0
	flat_store_dword v[1:2], v4
	s_waitcnt_vscnt null, 0x0
	ds_write_b32 v5, v3
.LBB3_14:
	s_or_b32 exec_lo, exec_lo, s13
.LBB3_15:
	s_or_b32 exec_lo, exec_lo, s12
.LBB3_16:
	s_or_b32 exec_lo, exec_lo, s14
	v_lshlrev_b32_e32 v13, 2, v0
	v_lshlrev_b32_e32 v14, 1, v0
	s_mov_b64 s[6:7], src_shared_base
	v_mov_b32_e32 v1, 0
	v_mov_b32_e32 v3, s7
	s_waitcnt lgkmcnt(0)
	v_add_co_u32 v18, s0, s10, v13
	v_add_co_ci_u32_e64 v19, null, s11, 0, s0
	v_add_co_u32 v20, s0, s8, v13
	v_or_b32_e32 v15, 2, v13
	v_or_b32_e32 v16, 1, v14
	v_mad_u32_u24 v17, v0, 12, v13
	v_add_co_ci_u32_e64 v21, null, s9, 0, s0
	v_mov_b32_e32 v4, 0x1010
	v_mov_b32_e32 v5, s7
	;; [unrolled: 1-line block ×4, first 2 shown]
	v_lshlrev_b32_e32 v22, 2, v13
	v_mov_b32_e32 v2, 0x1014
	v_mov_b32_e32 v8, 0x101c
	s_add_u32 s4, s4, 56
	s_addc_u32 s5, s5, 0
	s_mov_b32 s1, 0
	s_movk_i32 s6, 0x1010
	s_movk_i32 s8, 0x1014
	s_barrier
	v_cmp_eq_u32_e32 vcc_lo, 0x7f, v0
	buffer_gl0_inv
	s_branch .LBB3_19
.LBB3_17:                               ;   in Loop: Header=BB3_19 Depth=1
	s_or_b32 exec_lo, exec_lo, s0
	s_xor_b32 s0, exec_lo, -1
	s_waitcnt lgkmcnt(0)
	s_waitcnt_vscnt null, 0x0
	s_barrier
	buffer_gl0_inv
.LBB3_18:                               ;   in Loop: Header=BB3_19 Depth=1
	s_or_b32 exec_lo, exec_lo, s10
	s_and_b32 s0, exec_lo, s0
	s_or_b32 s1, s0, s1
	s_andn2_b32 exec_lo, exec_lo, s1
	s_cbranch_execz .LBB3_43
.LBB3_19:                               ; =>This Loop Header: Depth=1
                                        ;     Child Loop BB3_24 Depth 2
	flat_load_dword v0, v[4:5] glc dlc
	s_waitcnt vmcnt(0)
	flat_load_dword v9, v[6:7] glc dlc
	s_waitcnt vmcnt(0)
	s_mov_b32 s11, -1
	s_mov_b32 s9, exec_lo
	s_waitcnt lgkmcnt(0)
	v_cmpx_ge_u32_e64 v0, v9
	s_cbranch_execz .LBB3_21
; %bb.20:                               ;   in Loop: Header=BB3_19 Depth=1
	v_mov_b32_e32 v9, v3
	flat_load_dword v0, v[2:3] glc dlc
	s_waitcnt vmcnt(0)
	flat_load_dword v9, v[8:9] glc dlc
	s_waitcnt vmcnt(0) lgkmcnt(0)
	v_cmp_lt_u32_e64 s0, v0, v9
	s_orn2_b32 s11, s0, exec_lo
.LBB3_21:                               ;   in Loop: Header=BB3_19 Depth=1
	s_or_b32 exec_lo, exec_lo, s9
	s_mov_b32 s0, -1
	s_and_saveexec_b32 s10, s11
	s_cbranch_execz .LBB3_18
; %bb.22:                               ;   in Loop: Header=BB3_19 Depth=1
	s_mov_b32 s9, s7
	v_mov_b32_e32 v10, s7
	v_mov_b32_e32 v9, s6
	;; [unrolled: 1-line block ×5, first 2 shown]
	s_mov_b32 s11, 0
	flat_load_dword v0, v[9:10] glc dlc
	s_waitcnt vmcnt(0)
	flat_load_dword v23, v[11:12] glc dlc
	s_waitcnt vmcnt(0)
	s_load_dword s0, s[4:5], 0xc
                                        ; implicit-def: $sgpr12
	s_waitcnt lgkmcnt(0)
	s_and_b32 s0, s0, 0xffff
	s_lshl_b32 s9, s0, 2
	v_lshlrev_b64 v[25:26], 2, v[0:1]
	v_lshlrev_b64 v[23:24], 2, v[23:24]
	v_add_co_u32 v25, s0, v18, v25
	v_add_co_ci_u32_e64 v26, null, v19, v26, s0
	v_add_co_u32 v23, s0, v20, v23
	v_add_co_ci_u32_e64 v24, null, v21, v24, s0
	global_load_dword v0, v[25:26], off
	v_add_co_u32 v25, s0, v25, s9
	v_add_co_ci_u32_e64 v26, null, 0, v26, s0
	global_load_dword v33, v[23:24], off
	;; [unrolled: 3-line block ×3, first 2 shown]
	v_add_co_u32 v25, s0, v25, s9
	v_add_co_ci_u32_e64 v26, null, 0, v26, s0
	v_add_co_u32 v27, s0, v23, s9
	v_add_co_ci_u32_e64 v28, null, 0, v24, s0
	;; [unrolled: 2-line block ×4, first 2 shown]
	global_load_dword v23, v[23:24], off
	global_load_dword v24, v[25:26], off
	;; [unrolled: 1-line block ×5, first 2 shown]
	v_add_nc_u32_e32 v28, s9, v13
	v_add_nc_u32_e32 v29, s9, v28
	;; [unrolled: 1-line block ×3, first 2 shown]
	s_mov_b32 s9, 0
	s_waitcnt vmcnt(7)
	ds_write_b32 v13, v0 offset:4
	s_waitcnt vmcnt(6)
	ds_write_b32 v13, v33 offset:2060
	;; [unrolled: 2-line block ×8, first 2 shown]
	flat_load_dword v0, v[9:10] glc dlc
	s_waitcnt vmcnt(0)
	flat_load_dword v9, v[11:12] glc dlc
	s_waitcnt vmcnt(0)
	v_mov_b32_e32 v12, v14
	v_mov_b32_e32 v24, v16
	s_waitcnt lgkmcnt(0)
	s_barrier
	buffer_gl0_inv
	s_inst_prefetch 0x1
	s_branch .LBB3_24
	.p2align	6
.LBB3_23:                               ;   in Loop: Header=BB3_24 Depth=2
	s_or_b32 exec_lo, exec_lo, s12
	s_and_b32 s0, exec_lo, s11
	s_mov_b32 s11, 0
	s_or_b32 s9, s0, s9
                                        ; implicit-def: $sgpr12
	s_andn2_b32 exec_lo, exec_lo, s9
	s_cbranch_execz .LBB3_29
.LBB3_24:                               ;   Parent Loop BB3_19 Depth=1
                                        ; =>  This Inner Loop Header: Depth=2
	v_mov_b32_e32 v10, v24
	v_add_nc_u32_e32 v12, 1, v12
	s_or_b32 s12, s12, exec_lo
	v_not_b32_e32 v11, v10
	v_lshlrev_b32_e32 v23, 2, v10
	v_lshrrev_b32_e32 v12, 1, v12
	v_lshl_add_u32 v25, v11, 2, v17
	ds_read_b32 v11, v23
	ds_read_b32 v24, v25 offset:2064
	s_waitcnt lgkmcnt(0)
	v_cmp_ngt_f32_e64 s0, v11, v24
                                        ; implicit-def: $vgpr24
	s_and_saveexec_b32 s13, s0
; %bb.25:                               ;   in Loop: Header=BB3_24 Depth=2
	v_add_nc_u32_e32 v24, v12, v10
	s_andn2_b32 s12, s12, exec_lo
; %bb.26:                               ;   in Loop: Header=BB3_24 Depth=2
	s_or_b32 exec_lo, exec_lo, s13
	s_and_b32 s0, exec_lo, s12
	s_or_b32 s11, s0, s11
	s_andn2_b32 exec_lo, exec_lo, s11
	s_cbranch_execnz .LBB3_24
; %bb.27:                               ;   in Loop: Header=BB3_24 Depth=2
	s_or_b32 exec_lo, exec_lo, s11
	v_add_nc_u32_e32 v24, -4, v23
	s_mov_b32 s11, -1
	ds_read_b32 v24, v24
	ds_read_b32 v25, v25 offset:2068
	s_waitcnt lgkmcnt(0)
	v_cmp_nle_f32_e64 s0, v24, v25
                                        ; implicit-def: $vgpr24
	s_and_saveexec_b32 s12, s0
	s_cbranch_execz .LBB3_23
; %bb.28:                               ;   in Loop: Header=BB3_24 Depth=2
	v_sub_nc_u32_e32 v24, v10, v12
	s_xor_b32 s11, exec_lo, -1
	s_branch .LBB3_23
.LBB3_29:                               ;   in Loop: Header=BB3_19 Depth=1
	s_inst_prefetch 0x2
	s_or_b32 exec_lo, exec_lo, s9
	v_sub_nc_u32_e32 v12, v13, v10
                                        ; implicit-def: $vgpr24
	v_lshlrev_b32_e32 v27, 2, v12
                                        ; implicit-def: $vgpr12
	ds_read_b32 v26, v27 offset:2064
	s_waitcnt lgkmcnt(0)
	v_cmp_ngt_f32_e64 s0, v11, v26
	s_and_saveexec_b32 s9, s0
	s_xor_b32 s0, exec_lo, s9
; %bb.30:                               ;   in Loop: Header=BB3_19 Depth=1
	ds_read_b32 v12, v23 offset:4
	v_add_nc_u32_e32 v24, 1, v10
                                        ; implicit-def: $vgpr27
; %bb.31:                               ;   in Loop: Header=BB3_19 Depth=1
	s_or_saveexec_b32 s0, s0
	v_sub_nc_u32_e32 v23, v15, v10
	v_mov_b32_e32 v25, v26
	s_xor_b32 exec_lo, exec_lo, s0
	s_cbranch_execz .LBB3_33
; %bb.32:                               ;   in Loop: Header=BB3_19 Depth=1
	ds_read_b32 v25, v27 offset:2068
	v_add_nc_u32_e32 v23, 1, v23
	v_mov_b32_e32 v24, v10
	s_waitcnt lgkmcnt(1)
	v_mov_b32_e32 v12, v11
	v_mov_b32_e32 v11, v26
.LBB3_33:                               ;   in Loop: Header=BB3_19 Depth=1
	s_or_b32 exec_lo, exec_lo, s0
	v_mov_b32_e32 v10, v1
	v_lshlrev_b64 v[26:27], 2, v[0:1]
	v_lshlrev_b64 v[9:10], 2, v[9:10]
	v_add_co_u32 v0, s0, s2, v26
	v_add_co_ci_u32_e64 v26, null, s3, v27, s0
	v_add_co_u32 v0, s0, v0, v9
	v_add_co_ci_u32_e64 v10, null, v26, v10, s0
	;; [unrolled: 2-line block ×3, first 2 shown]
	s_waitcnt lgkmcnt(0)
	v_cmp_ngt_f32_e64 s0, v12, v25
                                        ; implicit-def: $vgpr0
	global_store_dword v[9:10], v11, off
                                        ; implicit-def: $vgpr11
	s_and_saveexec_b32 s9, s0
	s_xor_b32 s0, exec_lo, s9
; %bb.34:                               ;   in Loop: Header=BB3_19 Depth=1
	v_lshlrev_b32_e32 v0, 2, v24
	ds_read_b32 v11, v0 offset:4
	v_add_nc_u32_e32 v0, 1, v24
                                        ; implicit-def: $vgpr24
; %bb.35:                               ;   in Loop: Header=BB3_19 Depth=1
	s_or_saveexec_b32 s0, s0
	v_mov_b32_e32 v26, v25
	s_xor_b32 exec_lo, exec_lo, s0
	s_cbranch_execz .LBB3_37
; %bb.36:                               ;   in Loop: Header=BB3_19 Depth=1
	v_lshlrev_b32_e32 v0, 2, v23
	v_add_nc_u32_e32 v23, 1, v23
	s_waitcnt lgkmcnt(0)
	v_mov_b32_e32 v11, v12
	v_mov_b32_e32 v12, v25
	ds_read_b32 v26, v0 offset:2060
	v_mov_b32_e32 v0, v24
.LBB3_37:                               ;   in Loop: Header=BB3_19 Depth=1
	s_or_b32 exec_lo, exec_lo, s0
	s_waitcnt lgkmcnt(0)
	v_cmp_ngt_f32_e64 s0, v11, v26
	global_store_dword v[9:10], v12, off offset:4
                                        ; implicit-def: $vgpr12
	s_and_saveexec_b32 s9, s0
	s_xor_b32 s0, exec_lo, s9
; %bb.38:                               ;   in Loop: Header=BB3_19 Depth=1
	v_lshlrev_b32_e32 v12, 2, v0
	v_add_nc_u32_e32 v23, -1, v23
	ds_read_b32 v12, v12 offset:4
; %bb.39:                               ;   in Loop: Header=BB3_19 Depth=1
	s_or_saveexec_b32 s0, s0
	v_mov_b32_e32 v24, v26
	s_xor_b32 exec_lo, exec_lo, s0
	s_cbranch_execz .LBB3_41
; %bb.40:                               ;   in Loop: Header=BB3_19 Depth=1
	s_waitcnt lgkmcnt(0)
	v_lshlrev_b32_e32 v12, 2, v23
	v_add_nc_u32_e32 v0, -1, v0
	ds_read_b32 v24, v12 offset:2060
	v_mov_b32_e32 v12, v11
	v_mov_b32_e32 v11, v26
.LBB3_41:                               ;   in Loop: Header=BB3_19 Depth=1
	s_or_b32 exec_lo, exec_lo, s0
	s_waitcnt lgkmcnt(0)
	v_cmp_gt_f32_e64 s0, v12, v24
	v_cndmask_b32_e64 v12, v12, v24, s0
	global_store_dwordx2 v[9:10], v[11:12], off offset:8
	s_and_saveexec_b32 s0, vcc_lo
	s_cbranch_execz .LBB3_17
; %bb.42:                               ;   in Loop: Header=BB3_19 Depth=1
	v_mov_b32_e32 v10, s7
	v_mov_b32_e32 v9, s6
	s_mov_b32 s9, s7
	flat_load_dword v11, v[9:10] glc dlc
	s_waitcnt vmcnt(0) lgkmcnt(0)
	v_add_nc_u32_e32 v0, v11, v0
	v_mov_b32_e32 v12, s9
	v_mov_b32_e32 v11, s8
	flat_store_dword v[9:10], v0
	s_waitcnt_vscnt null, 0x0
	flat_load_dword v0, v[11:12] glc dlc
	s_waitcnt vmcnt(0) lgkmcnt(0)
	v_add_nc_u32_e32 v0, v0, v23
	flat_store_dword v[11:12], v0
	s_waitcnt_vscnt null, 0x0
	s_branch .LBB3_17
.LBB3_43:
	s_endpgm
	.section	.rodata,"a",@progbits
	.p2align	6, 0x0
	.amdhsa_kernel _Z15mergeSinglePathIfLb0ELb0EEvPKT_jS2_jPKjPS0_j
		.amdhsa_group_segment_fixed_size 4128
		.amdhsa_private_segment_fixed_size 0
		.amdhsa_kernarg_size 312
		.amdhsa_user_sgpr_count 6
		.amdhsa_user_sgpr_private_segment_buffer 1
		.amdhsa_user_sgpr_dispatch_ptr 0
		.amdhsa_user_sgpr_queue_ptr 0
		.amdhsa_user_sgpr_kernarg_segment_ptr 1
		.amdhsa_user_sgpr_dispatch_id 0
		.amdhsa_user_sgpr_flat_scratch_init 0
		.amdhsa_user_sgpr_private_segment_size 0
		.amdhsa_wavefront_size32 1
		.amdhsa_uses_dynamic_stack 0
		.amdhsa_system_sgpr_private_segment_wavefront_offset 0
		.amdhsa_system_sgpr_workgroup_id_x 1
		.amdhsa_system_sgpr_workgroup_id_y 0
		.amdhsa_system_sgpr_workgroup_id_z 0
		.amdhsa_system_sgpr_workgroup_info 0
		.amdhsa_system_vgpr_workitem_id 0
		.amdhsa_next_free_vgpr 35
		.amdhsa_next_free_sgpr 18
		.amdhsa_reserve_vcc 1
		.amdhsa_reserve_flat_scratch 0
		.amdhsa_float_round_mode_32 0
		.amdhsa_float_round_mode_16_64 0
		.amdhsa_float_denorm_mode_32 3
		.amdhsa_float_denorm_mode_16_64 3
		.amdhsa_dx10_clamp 1
		.amdhsa_ieee_mode 1
		.amdhsa_fp16_overflow 0
		.amdhsa_workgroup_processor_mode 1
		.amdhsa_memory_ordered 1
		.amdhsa_forward_progress 1
		.amdhsa_shared_vgpr_count 0
		.amdhsa_exception_fp_ieee_invalid_op 0
		.amdhsa_exception_fp_denorm_src 0
		.amdhsa_exception_fp_ieee_div_zero 0
		.amdhsa_exception_fp_ieee_overflow 0
		.amdhsa_exception_fp_ieee_underflow 0
		.amdhsa_exception_fp_ieee_inexact 0
		.amdhsa_exception_int_div_zero 0
	.end_amdhsa_kernel
	.section	.text._Z15mergeSinglePathIfLb0ELb0EEvPKT_jS2_jPKjPS0_j,"axG",@progbits,_Z15mergeSinglePathIfLb0ELb0EEvPKT_jS2_jPKjPS0_j,comdat
.Lfunc_end3:
	.size	_Z15mergeSinglePathIfLb0ELb0EEvPKT_jS2_jPKjPS0_j, .Lfunc_end3-_Z15mergeSinglePathIfLb0ELb0EEvPKT_jS2_jPKjPS0_j
                                        ; -- End function
	.set _Z15mergeSinglePathIfLb0ELb0EEvPKT_jS2_jPKjPS0_j.num_vgpr, 35
	.set _Z15mergeSinglePathIfLb0ELb0EEvPKT_jS2_jPKjPS0_j.num_agpr, 0
	.set _Z15mergeSinglePathIfLb0ELb0EEvPKT_jS2_jPKjPS0_j.numbered_sgpr, 18
	.set _Z15mergeSinglePathIfLb0ELb0EEvPKT_jS2_jPKjPS0_j.num_named_barrier, 0
	.set _Z15mergeSinglePathIfLb0ELb0EEvPKT_jS2_jPKjPS0_j.private_seg_size, 0
	.set _Z15mergeSinglePathIfLb0ELb0EEvPKT_jS2_jPKjPS0_j.uses_vcc, 1
	.set _Z15mergeSinglePathIfLb0ELb0EEvPKT_jS2_jPKjPS0_j.uses_flat_scratch, 0
	.set _Z15mergeSinglePathIfLb0ELb0EEvPKT_jS2_jPKjPS0_j.has_dyn_sized_stack, 0
	.set _Z15mergeSinglePathIfLb0ELb0EEvPKT_jS2_jPKjPS0_j.has_recursion, 0
	.set _Z15mergeSinglePathIfLb0ELb0EEvPKT_jS2_jPKjPS0_j.has_indirect_call, 0
	.section	.AMDGPU.csdata,"",@progbits
; Kernel info:
; codeLenInByte = 2004
; TotalNumSgprs: 20
; NumVgprs: 35
; ScratchSize: 0
; MemoryBound: 0
; FloatMode: 240
; IeeeMode: 1
; LDSByteSize: 4128 bytes/workgroup (compile time only)
; SGPRBlocks: 0
; VGPRBlocks: 4
; NumSGPRsForWavesPerEU: 20
; NumVGPRsForWavesPerEU: 35
; Occupancy: 16
; WaveLimiterHint : 1
; COMPUTE_PGM_RSRC2:SCRATCH_EN: 0
; COMPUTE_PGM_RSRC2:USER_SGPR: 6
; COMPUTE_PGM_RSRC2:TRAP_HANDLER: 0
; COMPUTE_PGM_RSRC2:TGID_X_EN: 1
; COMPUTE_PGM_RSRC2:TGID_Y_EN: 0
; COMPUTE_PGM_RSRC2:TGID_Z_EN: 0
; COMPUTE_PGM_RSRC2:TIDIG_COMP_CNT: 0
	.section	.text._Z17workloadDiagonalsImEvPKT_jS2_jPj,"axG",@progbits,_Z17workloadDiagonalsImEvPKT_jS2_jPj,comdat
	.protected	_Z17workloadDiagonalsImEvPKT_jS2_jPj ; -- Begin function _Z17workloadDiagonalsImEvPKT_jS2_jPj
	.globl	_Z17workloadDiagonalsImEvPKT_jS2_jPj
	.p2align	8
	.type	_Z17workloadDiagonalsImEvPKT_jS2_jPj,@function
_Z17workloadDiagonalsImEvPKT_jS2_jPj:   ; @_Z17workloadDiagonalsImEvPKT_jS2_jPj
; %bb.0:
	s_clause 0x4
	s_load_dwordx2 s[10:11], s[4:5], 0x0
	s_load_dword s21, s[4:5], 0x8
	s_load_dwordx2 s[12:13], s[4:5], 0x10
	s_load_dword s20, s[4:5], 0x18
	s_load_dwordx2 s[8:9], s[4:5], 0x20
	v_cmp_ne_u32_e64 s0, 0, v0
	s_mov_b32 s2, 0
	s_mov_b32 s1, exec_lo
	v_cmpx_eq_u32_e32 0, v0
	s_cbranch_execz .LBB4_5
; %bb.1:
	s_load_dword s7, s[4:5], 0x28
	s_waitcnt lgkmcnt(0)
	s_add_u32 s14, s20, s21
	s_addc_u32 s3, 0, 0
	s_mul_hi_u32 s15, s14, s6
	s_mul_i32 s3, s3, s6
	s_mul_i32 s14, s14, s6
	s_add_i32 s3, s15, s3
	s_cmp_lg_u64 s[2:3], 0
	s_cbranch_scc0 .LBB4_21
; %bb.2:
	v_cvt_f32_u32_e32 v1, s7
	s_sub_u32 s16, 0, s7
	s_subb_u32 s17, 0, 0
	v_fmamk_f32 v1, 0, 0x4f800000, v1
	v_rcp_f32_e32 v1, v1
	v_mul_f32_e32 v1, 0x5f7ffffc, v1
	v_mul_f32_e32 v2, 0x2f800000, v1
	v_trunc_f32_e32 v2, v2
	v_fmamk_f32 v1, v2, 0xcf800000, v1
	v_cvt_u32_f32_e32 v2, v2
	v_cvt_u32_f32_e32 v1, v1
	v_readfirstlane_b32 s2, v2
	v_readfirstlane_b32 s15, v1
	s_mul_i32 s18, s16, s2
	s_mul_hi_u32 s22, s16, s15
	s_mul_i32 s19, s17, s15
	s_add_i32 s18, s22, s18
	s_mul_i32 s23, s16, s15
	s_add_i32 s18, s18, s19
	s_mul_hi_u32 s22, s15, s23
	s_mul_i32 s25, s15, s18
	s_mul_hi_u32 s24, s2, s23
	s_mul_i32 s19, s2, s23
	s_mul_hi_u32 s23, s15, s18
	s_add_u32 s22, s22, s25
	s_addc_u32 s23, 0, s23
	s_mul_hi_u32 s26, s2, s18
	s_add_u32 s19, s22, s19
	s_mul_i32 s18, s2, s18
	s_addc_u32 s19, s23, s24
	s_addc_u32 s22, s26, 0
	s_add_u32 s18, s19, s18
	s_addc_u32 s19, 0, s22
	s_add_u32 s15, s15, s18
	s_cselect_b32 s18, -1, 0
	s_mul_hi_u32 s22, s16, s15
	s_cmp_lg_u32 s18, 0
	s_mul_i32 s18, s16, s15
	s_addc_u32 s2, s2, s19
	s_mul_i32 s17, s17, s15
	s_mul_i32 s16, s16, s2
	s_mul_hi_u32 s19, s15, s18
	s_add_i32 s16, s22, s16
	s_mul_hi_u32 s22, s2, s18
	s_add_i32 s16, s16, s17
	s_mul_i32 s17, s2, s18
	s_mul_i32 s24, s15, s16
	s_mul_hi_u32 s23, s15, s16
	s_add_u32 s19, s19, s24
	s_addc_u32 s23, 0, s23
	s_mul_hi_u32 s18, s2, s16
	s_add_u32 s17, s19, s17
	s_mul_i32 s16, s2, s16
	s_addc_u32 s17, s23, s22
	s_addc_u32 s18, s18, 0
	s_add_u32 s16, s17, s16
	s_addc_u32 s17, 0, s18
	s_add_u32 s15, s15, s16
	s_cselect_b32 s16, -1, 0
	s_mul_hi_u32 s18, s14, s15
	s_cmp_lg_u32 s16, 0
	s_mul_hi_u32 s16, s3, s15
	s_addc_u32 s2, s2, s17
	s_mul_i32 s15, s3, s15
	s_mul_i32 s19, s14, s2
	s_mul_hi_u32 s17, s14, s2
	s_add_u32 s18, s18, s19
	s_addc_u32 s17, 0, s17
	s_mul_hi_u32 s22, s3, s2
	s_add_u32 s15, s18, s15
	s_mul_i32 s2, s3, s2
	s_addc_u32 s15, s17, s16
	s_addc_u32 s16, s22, 0
	s_add_u32 s2, s15, s2
	s_addc_u32 s15, 0, s16
	s_mul_hi_u32 s18, s7, s2
	s_mul_i32 s15, s7, s15
	s_mul_i32 s19, s7, s2
	s_add_u32 s16, s2, 1
	s_add_u32 s17, s2, 2
	s_add_i32 s18, s18, s15
	s_sub_u32 s15, s14, s19
	s_cselect_b32 s19, -1, 0
	s_cmp_lg_u32 s19, 0
	s_subb_u32 s3, s3, s18
	s_sub_u32 s18, s15, s7
	s_cselect_b32 s19, -1, 0
	s_cmp_lg_u32 s19, 0
	s_subb_u32 s19, s3, 0
	s_cmp_ge_u32 s18, s7
	s_cselect_b32 s18, -1, 0
	s_cmp_eq_u32 s19, 0
	s_cselect_b32 s18, s18, -1
	s_cmp_lg_u32 s18, 0
	s_cselect_b32 s16, s17, s16
	s_cmp_ge_u32 s15, s7
	s_cselect_b32 s15, -1, 0
	s_cmp_eq_u32 s3, 0
	s_cselect_b32 s3, s15, -1
	s_cmp_lg_u32 s3, 0
	s_cselect_b32 s2, s16, s2
	s_cbranch_execnz .LBB4_4
.LBB4_3:
	v_cvt_f32_u32_e32 v1, s7
	s_sub_i32 s3, 0, s7
	v_rcp_iflag_f32_e32 v1, v1
	v_mul_f32_e32 v1, 0x4f7ffffe, v1
	v_cvt_u32_f32_e32 v1, v1
	v_readfirstlane_b32 s2, v1
	s_mul_i32 s3, s3, s2
	s_mul_hi_u32 s3, s2, s3
	s_add_i32 s2, s2, s3
	s_mul_hi_u32 s2, s14, s2
	s_mul_i32 s3, s2, s7
	s_sub_i32 s3, s14, s3
	s_add_i32 s14, s2, 1
	s_sub_i32 s15, s3, s7
	s_cmp_ge_u32 s3, s7
	s_cselect_b32 s2, s14, s2
	s_cselect_b32 s3, s15, s3
	s_add_i32 s14, s2, 1
	s_cmp_ge_u32 s3, s7
	s_cselect_b32 s2, s14, s2
.LBB4_4:
	s_mov_b64 s[14:15], src_shared_base
	s_movk_i32 s14, 0x84
	s_min_u32 s3, s21, s2
	v_mov_b32_e32 v1, s14
	v_mov_b32_e32 v2, s15
	s_movk_i32 s14, 0x88
	v_mov_b32_e32 v5, s3
	v_mov_b32_e32 v3, s14
	v_sub_nc_u32_e64 v6, s2, s21 clamp
	v_mov_b32_e32 v4, s15
	flat_store_dword v[1:2], v5
	s_waitcnt_vscnt null, 0x0
	flat_store_dword v[3:4], v6
	s_waitcnt_vscnt null, 0x0
	flat_load_dword v5, v[3:4] glc dlc
	s_waitcnt vmcnt(0)
	v_mov_b32_e32 v3, 0x8c
	v_mov_b32_e32 v4, s15
	s_waitcnt lgkmcnt(0)
	flat_store_dword v[3:4], v5
	s_waitcnt_vscnt null, 0x0
	flat_load_dword v1, v[1:2] glc dlc
	s_waitcnt vmcnt(0)
	v_mov_b32_e32 v3, 0x90
	s_waitcnt lgkmcnt(0)
	flat_store_dword v[3:4], v1
	s_waitcnt_vscnt null, 0x0
	v_mov_b32_e32 v3, 0x80
	v_mov_b32_e32 v1, 0
	flat_store_dword v[3:4], v1
	s_waitcnt_vscnt null, 0x0
.LBB4_5:
	s_or_b32 exec_lo, exec_lo, s1
	s_mov_b64 s[2:3], src_shared_base
	v_mov_b32_e32 v1, 0x80
	v_mov_b32_e32 v2, s3
	s_waitcnt lgkmcnt(0)
	s_barrier
	buffer_gl0_inv
	s_mov_b32 s1, exec_lo
	flat_load_dword v1, v[1:2] glc dlc
	s_waitcnt vmcnt(0) lgkmcnt(0)
	v_cmpx_ne_u32_e32 0, v1
	s_xor_b32 s1, exec_lo, s1
	s_or_saveexec_b32 s22, s1
	v_mov_b32_e32 v1, s6
	s_xor_b32 exec_lo, exec_lo, s22
	s_cbranch_execz .LBB4_18
; %bb.6:
	s_mov_b64 s[2:3], src_shared_base
	s_mov_b32 s15, 0
	v_lshlrev_b32_e32 v15, 2, v0
	s_movk_i32 s2, 0x84
	s_mov_b32 s7, s15
	v_mov_b32_e32 v1, s2
	s_lshl_b64 s[16:17], s[6:7], 2
	v_mov_b32_e32 v2, s3
	s_movk_i32 s2, 0x88
	v_mov_b32_e32 v6, s3
	v_add_nc_u32_e32 v16, -16, v0
	v_add_nc_u32_e32 v17, -4, v15
	s_add_u32 s16, s8, s16
	v_mov_b32_e32 v4, s3
	v_mov_b32_e32 v3, 0x8c
	;; [unrolled: 1-line block ×11, first 2 shown]
	s_addc_u32 s17, s9, s17
	s_add_u32 s18, s4, 40
	s_addc_u32 s19, s5, 0
	s_add_i32 s23, s6, 1
	s_mov_b32 s7, 0
	v_cmp_eq_u32_e32 vcc_lo, 16, v0
	s_branch .LBB4_8
.LBB4_7:                                ;   in Loop: Header=BB4_8 Depth=1
	s_or_b32 exec_lo, exec_lo, s2
	s_waitcnt lgkmcnt(0)
	s_barrier
	buffer_gl0_inv
	flat_load_dword v9, v[11:12] glc dlc
	s_waitcnt vmcnt(0) lgkmcnt(0)
	v_cmp_ne_u32_e64 s1, 0, v9
	s_or_b32 s7, s1, s7
	s_andn2_b32 exec_lo, exec_lo, s7
	s_cbranch_execz .LBB4_17
.LBB4_8:                                ; =>This Inner Loop Header: Depth=1
	flat_load_dword v9, v[1:2] glc dlc
	s_waitcnt vmcnt(0)
	flat_load_dword v13, v[1:2] glc dlc
	s_waitcnt vmcnt(0)
	;; [unrolled: 2-line block ×5, first 2 shown]
	flat_load_dword v23, v[5:6] glc dlc
	s_waitcnt vmcnt(0) lgkmcnt(3)
	v_sub_nc_u32_e32 v13, v13, v14
	s_waitcnt lgkmcnt(0)
	v_sub_nc_u32_e32 v14, v22, v23
	v_ashrrev_i32_e32 v13, 1, v13
	v_add_nc_u32_e32 v13, v0, v13
	v_sub_nc_u32_e32 v9, v9, v13
	v_ashrrev_i32_e32 v13, 1, v14
	v_mov_b32_e32 v14, 0
	v_add_nc_u32_e32 v9, 16, v9
	v_add3_u32 v13, v21, v16, v13
	v_cmp_gt_i32_e64 s1, s21, v9
	v_cmp_lt_i32_e64 s2, -1, v13
	s_and_b32 s1, s1, s2
	s_and_saveexec_b32 s14, s1
	s_cbranch_execz .LBB4_12
; %bb.9:                                ;   in Loop: Header=BB4_8 Depth=1
	v_cmp_gt_i32_e64 s1, s20, v13
	v_cmp_lt_i32_e64 s2, 0, v9
	v_mov_b32_e32 v14, 1
	s_and_b32 s1, s2, s1
	s_and_saveexec_b32 s2, s1
	s_cbranch_execz .LBB4_11
; %bb.10:                               ;   in Loop: Header=BB4_8 Depth=1
	v_mov_b32_e32 v14, v10
	v_lshlrev_b64 v[21:22], 3, v[9:10]
	v_lshlrev_b64 v[23:24], 3, v[13:14]
	v_add_co_u32 v21, s1, s10, v21
	v_add_co_ci_u32_e64 v22, null, s11, v22, s1
	v_add_co_u32 v23, s1, s12, v23
	v_add_co_ci_u32_e64 v24, null, s13, v24, s1
	global_load_dwordx2 v[21:22], v[21:22], off offset:-8
	global_load_dwordx2 v[23:24], v[23:24], off
	s_waitcnt vmcnt(0)
	v_cmp_le_u64_e64 s1, v[21:22], v[23:24]
	v_cndmask_b32_e64 v14, 0, 1, s1
.LBB4_11:                               ;   in Loop: Header=BB4_8 Depth=1
	s_or_b32 exec_lo, exec_lo, s2
.LBB4_12:                               ;   in Loop: Header=BB4_8 Depth=1
	s_or_b32 exec_lo, exec_lo, s14
	ds_write_b32 v15, v14
	s_waitcnt lgkmcnt(0)
	s_barrier
	buffer_gl0_inv
	s_and_saveexec_b32 s2, s0
	s_cbranch_execz .LBB4_15
; %bb.13:                               ;   in Loop: Header=BB4_8 Depth=1
	ds_read2_b32 v[21:22], v17 offset1:1
	s_waitcnt lgkmcnt(0)
	v_cmp_ne_u32_e64 s1, v22, v21
	s_and_b32 exec_lo, exec_lo, s1
	s_cbranch_execz .LBB4_15
; %bb.14:                               ;   in Loop: Header=BB4_8 Depth=1
	flat_store_dword v[11:12], v18
	s_waitcnt_vscnt null, 0x0
	s_load_dword s1, s[18:19], 0x0
	s_waitcnt lgkmcnt(0)
	s_add_i32 s14, s23, s1
	s_lshl_b64 s[24:25], s[14:15], 2
	s_add_u32 s24, s8, s24
	s_addc_u32 s25, s9, s25
	global_store_dword v10, v9, s[16:17]
	global_store_dword v10, v13, s[24:25]
.LBB4_15:                               ;   in Loop: Header=BB4_8 Depth=1
	s_or_b32 exec_lo, exec_lo, s2
	s_waitcnt_vscnt null, 0x0
	s_barrier
	buffer_gl0_inv
	s_and_saveexec_b32 s2, vcc_lo
	s_cbranch_execz .LBB4_7
; %bb.16:                               ;   in Loop: Header=BB4_8 Depth=1
	ds_read_b32 v14, v10 offset:124
	v_mov_b32_e32 v22, s3
	v_mov_b32_e32 v24, s3
	s_waitcnt lgkmcnt(0)
	v_cmp_eq_u32_e64 s1, 0, v14
	v_cndmask_b32_e64 v21, 0x8c, v19, s1
	v_cndmask_b32_e64 v23, 0x90, v20, s1
	flat_store_dword v[21:22], v9
	s_waitcnt_vscnt null, 0x0
	flat_store_dword v[23:24], v13
	s_waitcnt_vscnt null, 0x0
	s_branch .LBB4_7
.LBB4_17:
	s_or_b32 exec_lo, exec_lo, s7
	v_mov_b32_e32 v1, s6
.LBB4_18:
	s_or_b32 exec_lo, exec_lo, s22
	v_or_b32_e32 v0, v0, v1
	s_mov_b32 s1, 0
	s_mov_b32 s0, exec_lo
	v_cmpx_eq_u32_e32 0, v0
	s_cbranch_execz .LBB4_20
; %bb.19:
	s_load_dword s0, s[4:5], 0x28
	s_mov_b32 s3, s1
	v_mov_b32_e32 v0, 0
	v_mov_b32_e32 v1, s21
	;; [unrolled: 1-line block ×3, first 2 shown]
	global_store_dword v0, v0, s[8:9]
	s_waitcnt lgkmcnt(0)
	s_add_i32 s2, s0, 1
	s_lshl_b64 s[2:3], s[2:3], 2
	s_add_u32 s2, s8, s2
	s_addc_u32 s3, s9, s3
	s_lshl_b64 s[4:5], s[0:1], 2
	global_store_dword v0, v0, s[2:3]
	s_add_u32 s4, s8, s4
	s_addc_u32 s5, s9, s5
	s_lshl_b32 s0, s0, 1
	s_lshl_b64 s[0:1], s[0:1], 2
	s_add_u32 s0, s8, s0
	s_addc_u32 s1, s9, s1
	global_store_dword v0, v1, s[4:5]
	global_store_dword v0, v2, s[0:1] offset:4
.LBB4_20:
	s_endpgm
.LBB4_21:
                                        ; implicit-def: $sgpr2_sgpr3
	s_branch .LBB4_3
	.section	.rodata,"a",@progbits
	.p2align	6, 0x0
	.amdhsa_kernel _Z17workloadDiagonalsImEvPKT_jS2_jPj
		.amdhsa_group_segment_fixed_size 148
		.amdhsa_private_segment_fixed_size 0
		.amdhsa_kernarg_size 296
		.amdhsa_user_sgpr_count 6
		.amdhsa_user_sgpr_private_segment_buffer 1
		.amdhsa_user_sgpr_dispatch_ptr 0
		.amdhsa_user_sgpr_queue_ptr 0
		.amdhsa_user_sgpr_kernarg_segment_ptr 1
		.amdhsa_user_sgpr_dispatch_id 0
		.amdhsa_user_sgpr_flat_scratch_init 0
		.amdhsa_user_sgpr_private_segment_size 0
		.amdhsa_wavefront_size32 1
		.amdhsa_uses_dynamic_stack 0
		.amdhsa_system_sgpr_private_segment_wavefront_offset 0
		.amdhsa_system_sgpr_workgroup_id_x 1
		.amdhsa_system_sgpr_workgroup_id_y 0
		.amdhsa_system_sgpr_workgroup_id_z 0
		.amdhsa_system_sgpr_workgroup_info 0
		.amdhsa_system_vgpr_workitem_id 0
		.amdhsa_next_free_vgpr 25
		.amdhsa_next_free_sgpr 27
		.amdhsa_reserve_vcc 1
		.amdhsa_reserve_flat_scratch 0
		.amdhsa_float_round_mode_32 0
		.amdhsa_float_round_mode_16_64 0
		.amdhsa_float_denorm_mode_32 3
		.amdhsa_float_denorm_mode_16_64 3
		.amdhsa_dx10_clamp 1
		.amdhsa_ieee_mode 1
		.amdhsa_fp16_overflow 0
		.amdhsa_workgroup_processor_mode 1
		.amdhsa_memory_ordered 1
		.amdhsa_forward_progress 1
		.amdhsa_shared_vgpr_count 0
		.amdhsa_exception_fp_ieee_invalid_op 0
		.amdhsa_exception_fp_denorm_src 0
		.amdhsa_exception_fp_ieee_div_zero 0
		.amdhsa_exception_fp_ieee_overflow 0
		.amdhsa_exception_fp_ieee_underflow 0
		.amdhsa_exception_fp_ieee_inexact 0
		.amdhsa_exception_int_div_zero 0
	.end_amdhsa_kernel
	.section	.text._Z17workloadDiagonalsImEvPKT_jS2_jPj,"axG",@progbits,_Z17workloadDiagonalsImEvPKT_jS2_jPj,comdat
.Lfunc_end4:
	.size	_Z17workloadDiagonalsImEvPKT_jS2_jPj, .Lfunc_end4-_Z17workloadDiagonalsImEvPKT_jS2_jPj
                                        ; -- End function
	.set _Z17workloadDiagonalsImEvPKT_jS2_jPj.num_vgpr, 25
	.set _Z17workloadDiagonalsImEvPKT_jS2_jPj.num_agpr, 0
	.set _Z17workloadDiagonalsImEvPKT_jS2_jPj.numbered_sgpr, 27
	.set _Z17workloadDiagonalsImEvPKT_jS2_jPj.num_named_barrier, 0
	.set _Z17workloadDiagonalsImEvPKT_jS2_jPj.private_seg_size, 0
	.set _Z17workloadDiagonalsImEvPKT_jS2_jPj.uses_vcc, 1
	.set _Z17workloadDiagonalsImEvPKT_jS2_jPj.uses_flat_scratch, 0
	.set _Z17workloadDiagonalsImEvPKT_jS2_jPj.has_dyn_sized_stack, 0
	.set _Z17workloadDiagonalsImEvPKT_jS2_jPj.has_recursion, 0
	.set _Z17workloadDiagonalsImEvPKT_jS2_jPj.has_indirect_call, 0
	.section	.AMDGPU.csdata,"",@progbits
; Kernel info:
; codeLenInByte = 1700
; TotalNumSgprs: 29
; NumVgprs: 25
; ScratchSize: 0
; MemoryBound: 0
; FloatMode: 240
; IeeeMode: 1
; LDSByteSize: 148 bytes/workgroup (compile time only)
; SGPRBlocks: 0
; VGPRBlocks: 3
; NumSGPRsForWavesPerEU: 29
; NumVGPRsForWavesPerEU: 25
; Occupancy: 16
; WaveLimiterHint : 1
; COMPUTE_PGM_RSRC2:SCRATCH_EN: 0
; COMPUTE_PGM_RSRC2:USER_SGPR: 6
; COMPUTE_PGM_RSRC2:TRAP_HANDLER: 0
; COMPUTE_PGM_RSRC2:TGID_X_EN: 1
; COMPUTE_PGM_RSRC2:TGID_Y_EN: 0
; COMPUTE_PGM_RSRC2:TGID_Z_EN: 0
; COMPUTE_PGM_RSRC2:TIDIG_COMP_CNT: 0
	.section	.text._Z15mergeSinglePathImLb0ELb0EEvPKT_jS2_jPKjPS0_j,"axG",@progbits,_Z15mergeSinglePathImLb0ELb0EEvPKT_jS2_jPKjPS0_j,comdat
	.protected	_Z15mergeSinglePathImLb0ELb0EEvPKT_jS2_jPKjPS0_j ; -- Begin function _Z15mergeSinglePathImLb0ELb0EEvPKT_jS2_jPKjPS0_j
	.globl	_Z15mergeSinglePathImLb0ELb0EEvPKT_jS2_jPKjPS0_j
	.p2align	8
	.type	_Z15mergeSinglePathImLb0ELb0EEvPKT_jS2_jPKjPS0_j,@function
_Z15mergeSinglePathImLb0ELb0EEvPKT_jS2_jPKjPS0_j: ; @_Z15mergeSinglePathImLb0ELb0EEvPKT_jS2_jPKjPS0_j
; %bb.0:
	s_clause 0x2
	s_load_dwordx2 s[10:11], s[4:5], 0x0
	s_load_dwordx2 s[8:9], s[4:5], 0x10
	s_load_dwordx4 s[0:3], s[4:5], 0x20
	v_alignbit_b32 v1, v0, v0, 5
	s_mov_b32 s7, exec_lo
	v_cmpx_lt_i32_e32 1, v1
	s_xor_b32 s7, exec_lo, s7
	s_cbranch_execz .LBB5_8
; %bb.1:
	s_mov_b32 s12, exec_lo
	v_cmpx_lt_i32_e32 2, v1
	s_xor_b32 s12, exec_lo, s12
	s_cbranch_execz .LBB5_5
; %bb.2:
	s_mov_b32 s13, exec_lo
	v_cmpx_eq_u32_e32 3, v1
	s_cbranch_execz .LBB5_4
; %bb.3:
	s_mov_b64 s[14:15], src_shared_base
	s_load_dword s14, s[4:5], 0x38
	s_mov_b32 s17, 0
	v_mov_b32_e32 v1, -1
	v_mov_b32_e32 v3, 0x202c
	v_mov_b32_e32 v5, 0
	;; [unrolled: 1-line block ×4, first 2 shown]
	s_waitcnt lgkmcnt(0)
	s_add_i32 s14, s6, s14
	s_add_i32 s16, s14, 2
	s_lshl_b64 s[16:17], s[16:17], 2
	s_add_u32 s16, s0, s16
	s_addc_u32 s17, s1, s17
	s_load_dword s14, s[16:17], 0x0
	s_waitcnt lgkmcnt(0)
	v_mov_b32_e32 v6, s14
	flat_store_dword v[3:4], v6
	s_waitcnt_vscnt null, 0x0
	ds_write_b64 v5, v[1:2] offset:8216
.LBB5_4:
	s_or_b32 exec_lo, exec_lo, s13
.LBB5_5:
	s_andn2_saveexec_b32 s12, s12
	s_cbranch_execz .LBB5_7
; %bb.6:
	s_load_dword s13, s[4:5], 0x38
	s_mov_b32 s17, 0
	v_mov_b32_e32 v1, -1
	s_mov_b64 s[14:15], src_shared_base
	v_mov_b32_e32 v3, 0x2024
	v_mov_b32_e32 v5, 0
	;; [unrolled: 1-line block ×4, first 2 shown]
	s_waitcnt lgkmcnt(0)
	s_add_i32 s13, s6, s13
	s_add_i32 s16, s13, 1
	s_lshl_b64 s[16:17], s[16:17], 2
	s_add_u32 s16, s0, s16
	s_addc_u32 s17, s1, s17
	s_load_dword s13, s[16:17], 0x0
	s_waitcnt lgkmcnt(0)
	v_mov_b32_e32 v6, s13
	flat_store_dword v[3:4], v6
	s_waitcnt_vscnt null, 0x0
	ds_write_b64 v5, v[1:2] offset:4104
.LBB5_7:
	s_or_b32 exec_lo, exec_lo, s12
                                        ; implicit-def: $vgpr1
.LBB5_8:
	s_andn2_saveexec_b32 s14, s7
	s_cbranch_execz .LBB5_16
; %bb.9:
	s_mov_b32 s13, 0
	s_mov_b32 s7, exec_lo
	v_cmpx_lt_i32_e32 0, v1
	s_xor_b32 s7, exec_lo, s7
	s_cbranch_execz .LBB5_11
; %bb.10:
	s_add_i32 s12, s6, 1
	v_mov_b32_e32 v1, 0
	s_lshl_b64 s[12:13], s[12:13], 2
	s_mov_b64 s[16:17], src_shared_base
	s_waitcnt lgkmcnt(0)
	s_add_u32 s12, s0, s12
	s_addc_u32 s13, s1, s13
	v_mov_b32_e32 v3, 0x2028
	s_load_dword s12, s[12:13], 0x0
	v_mov_b32_e32 v4, s17
	v_mov_b32_e32 v2, v1
	s_waitcnt lgkmcnt(0)
	v_mov_b32_e32 v5, s12
	flat_store_dword v[3:4], v5
	s_waitcnt_vscnt null, 0x0
	ds_write_b64 v1, v[1:2] offset:4112
                                        ; implicit-def: $vgpr1
.LBB5_11:
	s_andn2_saveexec_b32 s12, s7
	s_cbranch_execz .LBB5_15
; %bb.12:
	s_mov_b32 s7, 0
	s_mov_b32 s13, exec_lo
	v_cmpx_eq_u32_e32 0, v1
	s_cbranch_execz .LBB5_14
; %bb.13:
	s_lshl_b64 s[6:7], s[6:7], 2
	v_mov_b32_e32 v1, 0
	s_waitcnt lgkmcnt(0)
	s_add_u32 s0, s0, s6
	s_addc_u32 s1, s1, s7
	s_mov_b64 s[16:17], src_shared_base
	s_load_dword s0, s[0:1], 0x0
	v_mov_b32_e32 v3, 0x2020
	v_mov_b32_e32 v4, s17
	;; [unrolled: 1-line block ×3, first 2 shown]
	s_waitcnt lgkmcnt(0)
	v_mov_b32_e32 v5, s0
	flat_store_dword v[3:4], v5
	s_waitcnt_vscnt null, 0x0
	ds_write_b64 v1, v[1:2]
.LBB5_14:
	s_or_b32 exec_lo, exec_lo, s13
.LBB5_15:
	s_or_b32 exec_lo, exec_lo, s12
.LBB5_16:
	s_or_b32 exec_lo, exec_lo, s14
	v_lshlrev_b32_e32 v22, 3, v0
	v_lshlrev_b32_e32 v20, 2, v0
	;; [unrolled: 1-line block ×3, first 2 shown]
	s_mov_b64 s[6:7], src_shared_base
	v_mov_b32_e32 v4, 0
	s_waitcnt lgkmcnt(0)
	v_add_co_u32 v26, s0, s10, v22
	v_add_co_ci_u32_e64 v27, null, s11, 0, s0
	v_add_co_u32 v28, s0, s8, v22
	v_or_b32_e32 v23, 2, v20
	v_or_b32_e32 v24, 1, v21
	v_mad_u32_u24 v25, v0, 24, v22
	v_mov_b32_e32 v6, s7
	v_add_co_ci_u32_e64 v29, null, s9, 0, s0
	v_mov_b32_e32 v7, 0x2020
	v_mov_b32_e32 v8, s7
	;; [unrolled: 1-line block ×4, first 2 shown]
	v_lshlrev_b32_e32 v30, 3, v20
	v_mov_b32_e32 v5, 0x2024
	v_mov_b32_e32 v11, 0x202c
	s_add_u32 s4, s4, 56
	s_addc_u32 s5, s5, 0
	s_mov_b32 s1, 0
	s_movk_i32 s6, 0x2020
	s_movk_i32 s8, 0x2024
	s_barrier
	v_cmp_eq_u32_e32 vcc_lo, 0x7f, v0
	buffer_gl0_inv
	s_branch .LBB5_19
.LBB5_17:                               ;   in Loop: Header=BB5_19 Depth=1
	s_or_b32 exec_lo, exec_lo, s0
	s_xor_b32 s0, exec_lo, -1
	s_waitcnt lgkmcnt(0)
	s_waitcnt_vscnt null, 0x0
	s_barrier
	buffer_gl0_inv
.LBB5_18:                               ;   in Loop: Header=BB5_19 Depth=1
	s_or_b32 exec_lo, exec_lo, s10
	s_and_b32 s0, exec_lo, s0
	s_or_b32 s1, s0, s1
	s_andn2_b32 exec_lo, exec_lo, s1
	s_cbranch_execz .LBB5_43
.LBB5_19:                               ; =>This Loop Header: Depth=1
                                        ;     Child Loop BB5_24 Depth 2
	flat_load_dword v0, v[7:8] glc dlc
	s_waitcnt vmcnt(0)
	flat_load_dword v1, v[9:10] glc dlc
	s_waitcnt vmcnt(0)
	s_mov_b32 s11, -1
	s_mov_b32 s9, exec_lo
	s_waitcnt lgkmcnt(0)
	v_cmpx_ge_u32_e64 v0, v1
	s_cbranch_execz .LBB5_21
; %bb.20:                               ;   in Loop: Header=BB5_19 Depth=1
	v_mov_b32_e32 v12, v6
	flat_load_dword v0, v[5:6] glc dlc
	s_waitcnt vmcnt(0)
	flat_load_dword v1, v[11:12] glc dlc
	s_waitcnt vmcnt(0) lgkmcnt(0)
	v_cmp_lt_u32_e64 s0, v0, v1
	s_orn2_b32 s11, s0, exec_lo
.LBB5_21:                               ;   in Loop: Header=BB5_19 Depth=1
	s_or_b32 exec_lo, exec_lo, s9
	s_mov_b32 s0, -1
	s_and_saveexec_b32 s10, s11
	s_cbranch_execz .LBB5_18
; %bb.22:                               ;   in Loop: Header=BB5_19 Depth=1
	s_mov_b32 s9, s7
	v_mov_b32_e32 v0, s6
	v_mov_b32_e32 v1, s7
	;; [unrolled: 1-line block ×5, first 2 shown]
	s_mov_b32 s11, 0
	flat_load_dword v3, v[0:1] glc dlc
	s_waitcnt vmcnt(0)
	flat_load_dword v14, v[12:13] glc dlc
	s_waitcnt vmcnt(0)
	s_load_dword s0, s[4:5], 0xc
                                        ; implicit-def: $sgpr12
	s_waitcnt lgkmcnt(0)
	s_and_b32 s0, s0, 0xffff
	s_lshl_b32 s9, s0, 3
	v_add_nc_u32_e32 v39, s9, v22
	v_add_nc_u32_e32 v40, s9, v39
	;; [unrolled: 1-line block ×3, first 2 shown]
	v_lshlrev_b64 v[2:3], 3, v[3:4]
	v_lshlrev_b64 v[14:15], 3, v[14:15]
	v_add_co_u32 v2, s0, v26, v2
	v_add_co_ci_u32_e64 v3, null, v27, v3, s0
	v_add_co_u32 v14, s0, v28, v14
	v_add_co_ci_u32_e64 v15, null, v29, v15, s0
	global_load_dwordx2 v[16:17], v[2:3], off
	v_add_co_u32 v2, s0, v2, s9
	v_add_co_ci_u32_e64 v3, null, 0, v3, s0
	global_load_dwordx2 v[18:19], v[14:15], off
	;; [unrolled: 3-line block ×3, first 2 shown]
	v_add_co_u32 v2, s0, v2, s9
	v_add_co_ci_u32_e64 v3, null, 0, v3, s0
	v_add_co_u32 v33, s0, v14, s9
	v_add_co_ci_u32_e64 v34, null, 0, v15, s0
	;; [unrolled: 2-line block ×4, first 2 shown]
	global_load_dwordx2 v[14:15], v[14:15], off
	global_load_dwordx2 v[2:3], v[2:3], off
	global_load_dwordx2 v[33:34], v[33:34], off
	global_load_dwordx2 v[35:36], v[35:36], off
	global_load_dwordx2 v[37:38], v[37:38], off
	s_mov_b32 s9, 0
	s_waitcnt vmcnt(7)
	ds_write_b64 v22, v[16:17] offset:8
	s_waitcnt vmcnt(6)
	ds_write_b64 v22, v[18:19] offset:4120
	;; [unrolled: 2-line block ×8, first 2 shown]
	flat_load_dword v3, v[0:1] glc dlc
	s_waitcnt vmcnt(0)
	flat_load_dword v0, v[12:13] glc dlc
	s_waitcnt vmcnt(0)
	v_mov_b32_e32 v1, v21
	v_mov_b32_e32 v2, v24
	s_waitcnt lgkmcnt(0)
	s_barrier
	buffer_gl0_inv
	s_inst_prefetch 0x1
	s_branch .LBB5_24
	.p2align	6
.LBB5_23:                               ;   in Loop: Header=BB5_24 Depth=2
	s_or_b32 exec_lo, exec_lo, s12
	s_and_b32 s0, exec_lo, s11
	s_mov_b32 s11, 0
	s_or_b32 s9, s0, s9
                                        ; implicit-def: $sgpr12
	s_andn2_b32 exec_lo, exec_lo, s9
	s_cbranch_execz .LBB5_29
.LBB5_24:                               ;   Parent Loop BB5_19 Depth=1
                                        ; =>  This Inner Loop Header: Depth=2
	v_mov_b32_e32 v14, v2
	v_add_nc_u32_e32 v1, 1, v1
	s_or_b32 s12, s12, exec_lo
	s_mov_b32 s13, exec_lo
	v_not_b32_e32 v2, v14
	v_lshlrev_b32_e32 v15, 3, v14
	v_lshrrev_b32_e32 v1, 1, v1
	v_lshl_add_u32 v16, v2, 3, v25
                                        ; implicit-def: $vgpr2
	ds_read_b64 v[12:13], v15
	ds_read_b64 v[17:18], v16 offset:4128
	s_waitcnt lgkmcnt(0)
	v_cmpx_le_u64_e64 v[12:13], v[17:18]
; %bb.25:                               ;   in Loop: Header=BB5_24 Depth=2
	v_add_nc_u32_e32 v2, v1, v14
	s_andn2_b32 s12, s12, exec_lo
; %bb.26:                               ;   in Loop: Header=BB5_24 Depth=2
	s_or_b32 exec_lo, exec_lo, s13
	s_and_b32 s0, exec_lo, s12
	s_or_b32 s11, s0, s11
	s_andn2_b32 exec_lo, exec_lo, s11
	s_cbranch_execnz .LBB5_24
; %bb.27:                               ;   in Loop: Header=BB5_24 Depth=2
	s_or_b32 exec_lo, exec_lo, s11
	v_add_nc_u32_e32 v2, -8, v15
	s_mov_b32 s11, -1
	s_mov_b32 s12, exec_lo
	ds_read_b64 v[17:18], v2
	ds_read_b64 v[31:32], v16 offset:4136
                                        ; implicit-def: $vgpr2
	s_waitcnt lgkmcnt(0)
	v_cmpx_gt_u64_e64 v[17:18], v[31:32]
	s_cbranch_execz .LBB5_23
; %bb.28:                               ;   in Loop: Header=BB5_24 Depth=2
	v_sub_nc_u32_e32 v2, v14, v1
	s_xor_b32 s11, exec_lo, -1
	s_branch .LBB5_23
.LBB5_29:                               ;   in Loop: Header=BB5_19 Depth=1
	s_inst_prefetch 0x2
	s_or_b32 exec_lo, exec_lo, s9
	v_sub_nc_u32_e32 v1, v20, v14
                                        ; implicit-def: $vgpr16_vgpr17
                                        ; implicit-def: $vgpr33
	v_lshlrev_b32_e32 v32, 3, v1
	ds_read_b64 v[1:2], v32 offset:4128
	s_waitcnt lgkmcnt(0)
	v_cmp_le_u64_e64 s0, v[12:13], v[1:2]
	s_and_saveexec_b32 s9, s0
	s_xor_b32 s0, exec_lo, s9
; %bb.30:                               ;   in Loop: Header=BB5_19 Depth=1
	ds_read_b64 v[16:17], v15 offset:8
	v_add_nc_u32_e32 v33, 1, v14
                                        ; implicit-def: $vgpr32
; %bb.31:                               ;   in Loop: Header=BB5_19 Depth=1
	s_or_saveexec_b32 s0, s0
	v_mov_b32_e32 v19, v2
	v_sub_nc_u32_e32 v31, v23, v14
	v_mov_b32_e32 v18, v1
	s_xor_b32 exec_lo, exec_lo, s0
	s_cbranch_execz .LBB5_33
; %bb.32:                               ;   in Loop: Header=BB5_19 Depth=1
	ds_read_b64 v[18:19], v32 offset:4136
	s_waitcnt lgkmcnt(1)
	v_mov_b32_e32 v17, v13
	v_mov_b32_e32 v16, v12
	;; [unrolled: 1-line block ×3, first 2 shown]
	v_add_nc_u32_e32 v31, 1, v31
	v_mov_b32_e32 v33, v14
	v_mov_b32_e32 v12, v1
.LBB5_33:                               ;   in Loop: Header=BB5_19 Depth=1
	s_or_b32 exec_lo, exec_lo, s0
	v_mov_b32_e32 v1, v4
	v_lshlrev_b64 v[2:3], 3, v[3:4]
                                        ; implicit-def: $vgpr32
	v_lshlrev_b64 v[0:1], 3, v[0:1]
	v_add_co_u32 v2, s0, s2, v2
	v_add_co_ci_u32_e64 v3, null, s3, v3, s0
	v_add_co_u32 v0, s0, v2, v0
	v_add_co_ci_u32_e64 v1, null, v3, v1, s0
	;; [unrolled: 2-line block ×3, first 2 shown]
	s_waitcnt lgkmcnt(0)
	v_cmp_le_u64_e64 s0, v[16:17], v[18:19]
                                        ; implicit-def: $vgpr0_vgpr1
	global_store_dwordx2 v[14:15], v[12:13], off
	s_and_saveexec_b32 s9, s0
	s_xor_b32 s0, exec_lo, s9
; %bb.34:                               ;   in Loop: Header=BB5_19 Depth=1
	v_lshlrev_b32_e32 v0, 3, v33
	v_add_nc_u32_e32 v32, 1, v33
                                        ; implicit-def: $vgpr33
	ds_read_b64 v[0:1], v0 offset:8
; %bb.35:                               ;   in Loop: Header=BB5_19 Depth=1
	s_or_saveexec_b32 s0, s0
	v_mov_b32_e32 v2, v18
	v_mov_b32_e32 v3, v19
	s_xor_b32 exec_lo, exec_lo, s0
	s_cbranch_execz .LBB5_37
; %bb.36:                               ;   in Loop: Header=BB5_19 Depth=1
	s_waitcnt lgkmcnt(0)
	v_lshlrev_b32_e32 v0, 3, v31
	v_add_nc_u32_e32 v31, 1, v31
	v_mov_b32_e32 v32, v33
	ds_read_b64 v[2:3], v0 offset:4120
	v_mov_b32_e32 v0, v16
	v_mov_b32_e32 v1, v17
	;; [unrolled: 1-line block ×4, first 2 shown]
.LBB5_37:                               ;   in Loop: Header=BB5_19 Depth=1
	s_or_b32 exec_lo, exec_lo, s0
	s_waitcnt lgkmcnt(0)
	v_cmp_le_u64_e64 s0, v[0:1], v[2:3]
	global_store_dwordx2 v[14:15], v[16:17], off offset:8
                                        ; implicit-def: $vgpr12_vgpr13
	s_and_saveexec_b32 s9, s0
	s_xor_b32 s0, exec_lo, s9
; %bb.38:                               ;   in Loop: Header=BB5_19 Depth=1
	v_lshlrev_b32_e32 v12, 3, v32
	v_add_nc_u32_e32 v31, -1, v31
	ds_read_b64 v[12:13], v12 offset:8
; %bb.39:                               ;   in Loop: Header=BB5_19 Depth=1
	s_or_saveexec_b32 s0, s0
	v_mov_b32_e32 v17, v3
	v_mov_b32_e32 v16, v2
	s_xor_b32 exec_lo, exec_lo, s0
	s_cbranch_execz .LBB5_41
; %bb.40:                               ;   in Loop: Header=BB5_19 Depth=1
	s_waitcnt lgkmcnt(0)
	v_lshlrev_b32_e32 v12, 3, v31
	v_add_nc_u32_e32 v32, -1, v32
	ds_read_b64 v[16:17], v12 offset:4120
	v_mov_b32_e32 v13, v1
	v_mov_b32_e32 v12, v0
	;; [unrolled: 1-line block ×4, first 2 shown]
.LBB5_41:                               ;   in Loop: Header=BB5_19 Depth=1
	s_or_b32 exec_lo, exec_lo, s0
	s_waitcnt lgkmcnt(0)
	v_cmp_lt_u64_e64 s0, v[12:13], v[16:17]
	v_cndmask_b32_e64 v3, v17, v13, s0
	v_cndmask_b32_e64 v2, v16, v12, s0
	global_store_dwordx4 v[14:15], v[0:3], off offset:16
	s_and_saveexec_b32 s0, vcc_lo
	s_cbranch_execz .LBB5_17
; %bb.42:                               ;   in Loop: Header=BB5_19 Depth=1
	v_mov_b32_e32 v0, s6
	v_mov_b32_e32 v1, s7
	s_mov_b32 s9, s7
	flat_load_dword v2, v[0:1] glc dlc
	s_waitcnt vmcnt(0) lgkmcnt(0)
	v_add_nc_u32_e32 v12, v2, v32
	v_mov_b32_e32 v2, s8
	v_mov_b32_e32 v3, s9
	flat_store_dword v[0:1], v12
	s_waitcnt_vscnt null, 0x0
	flat_load_dword v0, v[2:3] glc dlc
	s_waitcnt vmcnt(0) lgkmcnt(0)
	v_add_nc_u32_e32 v0, v0, v31
	flat_store_dword v[2:3], v0
	s_waitcnt_vscnt null, 0x0
	s_branch .LBB5_17
.LBB5_43:
	s_endpgm
	.section	.rodata,"a",@progbits
	.p2align	6, 0x0
	.amdhsa_kernel _Z15mergeSinglePathImLb0ELb0EEvPKT_jS2_jPKjPS0_j
		.amdhsa_group_segment_fixed_size 8240
		.amdhsa_private_segment_fixed_size 0
		.amdhsa_kernarg_size 312
		.amdhsa_user_sgpr_count 6
		.amdhsa_user_sgpr_private_segment_buffer 1
		.amdhsa_user_sgpr_dispatch_ptr 0
		.amdhsa_user_sgpr_queue_ptr 0
		.amdhsa_user_sgpr_kernarg_segment_ptr 1
		.amdhsa_user_sgpr_dispatch_id 0
		.amdhsa_user_sgpr_flat_scratch_init 0
		.amdhsa_user_sgpr_private_segment_size 0
		.amdhsa_wavefront_size32 1
		.amdhsa_uses_dynamic_stack 0
		.amdhsa_system_sgpr_private_segment_wavefront_offset 0
		.amdhsa_system_sgpr_workgroup_id_x 1
		.amdhsa_system_sgpr_workgroup_id_y 0
		.amdhsa_system_sgpr_workgroup_id_z 0
		.amdhsa_system_sgpr_workgroup_info 0
		.amdhsa_system_vgpr_workitem_id 0
		.amdhsa_next_free_vgpr 42
		.amdhsa_next_free_sgpr 18
		.amdhsa_reserve_vcc 1
		.amdhsa_reserve_flat_scratch 0
		.amdhsa_float_round_mode_32 0
		.amdhsa_float_round_mode_16_64 0
		.amdhsa_float_denorm_mode_32 3
		.amdhsa_float_denorm_mode_16_64 3
		.amdhsa_dx10_clamp 1
		.amdhsa_ieee_mode 1
		.amdhsa_fp16_overflow 0
		.amdhsa_workgroup_processor_mode 1
		.amdhsa_memory_ordered 1
		.amdhsa_forward_progress 1
		.amdhsa_shared_vgpr_count 0
		.amdhsa_exception_fp_ieee_invalid_op 0
		.amdhsa_exception_fp_denorm_src 0
		.amdhsa_exception_fp_ieee_div_zero 0
		.amdhsa_exception_fp_ieee_overflow 0
		.amdhsa_exception_fp_ieee_underflow 0
		.amdhsa_exception_fp_ieee_inexact 0
		.amdhsa_exception_int_div_zero 0
	.end_amdhsa_kernel
	.section	.text._Z15mergeSinglePathImLb0ELb0EEvPKT_jS2_jPKjPS0_j,"axG",@progbits,_Z15mergeSinglePathImLb0ELb0EEvPKT_jS2_jPKjPS0_j,comdat
.Lfunc_end5:
	.size	_Z15mergeSinglePathImLb0ELb0EEvPKT_jS2_jPKjPS0_j, .Lfunc_end5-_Z15mergeSinglePathImLb0ELb0EEvPKT_jS2_jPKjPS0_j
                                        ; -- End function
	.set _Z15mergeSinglePathImLb0ELb0EEvPKT_jS2_jPKjPS0_j.num_vgpr, 42
	.set _Z15mergeSinglePathImLb0ELb0EEvPKT_jS2_jPKjPS0_j.num_agpr, 0
	.set _Z15mergeSinglePathImLb0ELb0EEvPKT_jS2_jPKjPS0_j.numbered_sgpr, 18
	.set _Z15mergeSinglePathImLb0ELb0EEvPKT_jS2_jPKjPS0_j.num_named_barrier, 0
	.set _Z15mergeSinglePathImLb0ELb0EEvPKT_jS2_jPKjPS0_j.private_seg_size, 0
	.set _Z15mergeSinglePathImLb0ELb0EEvPKT_jS2_jPKjPS0_j.uses_vcc, 1
	.set _Z15mergeSinglePathImLb0ELb0EEvPKT_jS2_jPKjPS0_j.uses_flat_scratch, 0
	.set _Z15mergeSinglePathImLb0ELb0EEvPKT_jS2_jPKjPS0_j.has_dyn_sized_stack, 0
	.set _Z15mergeSinglePathImLb0ELb0EEvPKT_jS2_jPKjPS0_j.has_recursion, 0
	.set _Z15mergeSinglePathImLb0ELb0EEvPKT_jS2_jPKjPS0_j.has_indirect_call, 0
	.section	.AMDGPU.csdata,"",@progbits
; Kernel info:
; codeLenInByte = 2048
; TotalNumSgprs: 20
; NumVgprs: 42
; ScratchSize: 0
; MemoryBound: 0
; FloatMode: 240
; IeeeMode: 1
; LDSByteSize: 8240 bytes/workgroup (compile time only)
; SGPRBlocks: 0
; VGPRBlocks: 5
; NumSGPRsForWavesPerEU: 20
; NumVGPRsForWavesPerEU: 42
; Occupancy: 16
; WaveLimiterHint : 1
; COMPUTE_PGM_RSRC2:SCRATCH_EN: 0
; COMPUTE_PGM_RSRC2:USER_SGPR: 6
; COMPUTE_PGM_RSRC2:TRAP_HANDLER: 0
; COMPUTE_PGM_RSRC2:TGID_X_EN: 1
; COMPUTE_PGM_RSRC2:TGID_Y_EN: 0
; COMPUTE_PGM_RSRC2:TGID_Z_EN: 0
; COMPUTE_PGM_RSRC2:TIDIG_COMP_CNT: 0
	.section	.text._Z17workloadDiagonalsIdEvPKT_jS2_jPj,"axG",@progbits,_Z17workloadDiagonalsIdEvPKT_jS2_jPj,comdat
	.protected	_Z17workloadDiagonalsIdEvPKT_jS2_jPj ; -- Begin function _Z17workloadDiagonalsIdEvPKT_jS2_jPj
	.globl	_Z17workloadDiagonalsIdEvPKT_jS2_jPj
	.p2align	8
	.type	_Z17workloadDiagonalsIdEvPKT_jS2_jPj,@function
_Z17workloadDiagonalsIdEvPKT_jS2_jPj:   ; @_Z17workloadDiagonalsIdEvPKT_jS2_jPj
; %bb.0:
	s_clause 0x4
	s_load_dwordx2 s[10:11], s[4:5], 0x0
	s_load_dword s21, s[4:5], 0x8
	s_load_dwordx2 s[12:13], s[4:5], 0x10
	s_load_dword s20, s[4:5], 0x18
	s_load_dwordx2 s[8:9], s[4:5], 0x20
	v_cmp_ne_u32_e64 s0, 0, v0
	s_mov_b32 s2, 0
	s_mov_b32 s1, exec_lo
	v_cmpx_eq_u32_e32 0, v0
	s_cbranch_execz .LBB6_5
; %bb.1:
	s_load_dword s7, s[4:5], 0x28
	s_waitcnt lgkmcnt(0)
	s_add_u32 s14, s20, s21
	s_addc_u32 s3, 0, 0
	s_mul_hi_u32 s15, s14, s6
	s_mul_i32 s3, s3, s6
	s_mul_i32 s14, s14, s6
	s_add_i32 s3, s15, s3
	s_cmp_lg_u64 s[2:3], 0
	s_cbranch_scc0 .LBB6_21
; %bb.2:
	v_cvt_f32_u32_e32 v1, s7
	s_sub_u32 s16, 0, s7
	s_subb_u32 s17, 0, 0
	v_fmamk_f32 v1, 0, 0x4f800000, v1
	v_rcp_f32_e32 v1, v1
	v_mul_f32_e32 v1, 0x5f7ffffc, v1
	v_mul_f32_e32 v2, 0x2f800000, v1
	v_trunc_f32_e32 v2, v2
	v_fmamk_f32 v1, v2, 0xcf800000, v1
	v_cvt_u32_f32_e32 v2, v2
	v_cvt_u32_f32_e32 v1, v1
	v_readfirstlane_b32 s2, v2
	v_readfirstlane_b32 s15, v1
	s_mul_i32 s18, s16, s2
	s_mul_hi_u32 s22, s16, s15
	s_mul_i32 s19, s17, s15
	s_add_i32 s18, s22, s18
	s_mul_i32 s23, s16, s15
	s_add_i32 s18, s18, s19
	s_mul_hi_u32 s22, s15, s23
	s_mul_i32 s25, s15, s18
	s_mul_hi_u32 s24, s2, s23
	s_mul_i32 s19, s2, s23
	s_mul_hi_u32 s23, s15, s18
	s_add_u32 s22, s22, s25
	s_addc_u32 s23, 0, s23
	s_mul_hi_u32 s26, s2, s18
	s_add_u32 s19, s22, s19
	s_mul_i32 s18, s2, s18
	s_addc_u32 s19, s23, s24
	s_addc_u32 s22, s26, 0
	s_add_u32 s18, s19, s18
	s_addc_u32 s19, 0, s22
	s_add_u32 s15, s15, s18
	s_cselect_b32 s18, -1, 0
	s_mul_hi_u32 s22, s16, s15
	s_cmp_lg_u32 s18, 0
	s_mul_i32 s18, s16, s15
	s_addc_u32 s2, s2, s19
	s_mul_i32 s17, s17, s15
	s_mul_i32 s16, s16, s2
	s_mul_hi_u32 s19, s15, s18
	s_add_i32 s16, s22, s16
	s_mul_hi_u32 s22, s2, s18
	s_add_i32 s16, s16, s17
	s_mul_i32 s17, s2, s18
	s_mul_i32 s24, s15, s16
	s_mul_hi_u32 s23, s15, s16
	s_add_u32 s19, s19, s24
	s_addc_u32 s23, 0, s23
	s_mul_hi_u32 s18, s2, s16
	s_add_u32 s17, s19, s17
	s_mul_i32 s16, s2, s16
	s_addc_u32 s17, s23, s22
	s_addc_u32 s18, s18, 0
	s_add_u32 s16, s17, s16
	s_addc_u32 s17, 0, s18
	s_add_u32 s15, s15, s16
	s_cselect_b32 s16, -1, 0
	s_mul_hi_u32 s18, s14, s15
	s_cmp_lg_u32 s16, 0
	s_mul_hi_u32 s16, s3, s15
	s_addc_u32 s2, s2, s17
	s_mul_i32 s15, s3, s15
	s_mul_i32 s19, s14, s2
	s_mul_hi_u32 s17, s14, s2
	s_add_u32 s18, s18, s19
	s_addc_u32 s17, 0, s17
	s_mul_hi_u32 s22, s3, s2
	s_add_u32 s15, s18, s15
	s_mul_i32 s2, s3, s2
	s_addc_u32 s15, s17, s16
	s_addc_u32 s16, s22, 0
	s_add_u32 s2, s15, s2
	s_addc_u32 s15, 0, s16
	s_mul_hi_u32 s18, s7, s2
	s_mul_i32 s15, s7, s15
	s_mul_i32 s19, s7, s2
	s_add_u32 s16, s2, 1
	s_add_u32 s17, s2, 2
	s_add_i32 s18, s18, s15
	s_sub_u32 s15, s14, s19
	s_cselect_b32 s19, -1, 0
	s_cmp_lg_u32 s19, 0
	s_subb_u32 s3, s3, s18
	s_sub_u32 s18, s15, s7
	s_cselect_b32 s19, -1, 0
	s_cmp_lg_u32 s19, 0
	s_subb_u32 s19, s3, 0
	s_cmp_ge_u32 s18, s7
	s_cselect_b32 s18, -1, 0
	s_cmp_eq_u32 s19, 0
	s_cselect_b32 s18, s18, -1
	s_cmp_lg_u32 s18, 0
	s_cselect_b32 s16, s17, s16
	s_cmp_ge_u32 s15, s7
	s_cselect_b32 s15, -1, 0
	s_cmp_eq_u32 s3, 0
	s_cselect_b32 s3, s15, -1
	s_cmp_lg_u32 s3, 0
	s_cselect_b32 s2, s16, s2
	s_cbranch_execnz .LBB6_4
.LBB6_3:
	v_cvt_f32_u32_e32 v1, s7
	s_sub_i32 s3, 0, s7
	v_rcp_iflag_f32_e32 v1, v1
	v_mul_f32_e32 v1, 0x4f7ffffe, v1
	v_cvt_u32_f32_e32 v1, v1
	v_readfirstlane_b32 s2, v1
	s_mul_i32 s3, s3, s2
	s_mul_hi_u32 s3, s2, s3
	s_add_i32 s2, s2, s3
	s_mul_hi_u32 s2, s14, s2
	s_mul_i32 s3, s2, s7
	s_sub_i32 s3, s14, s3
	s_add_i32 s14, s2, 1
	s_sub_i32 s15, s3, s7
	s_cmp_ge_u32 s3, s7
	s_cselect_b32 s2, s14, s2
	s_cselect_b32 s3, s15, s3
	s_add_i32 s14, s2, 1
	s_cmp_ge_u32 s3, s7
	s_cselect_b32 s2, s14, s2
.LBB6_4:
	s_mov_b64 s[14:15], src_shared_base
	s_movk_i32 s14, 0x84
	s_min_u32 s3, s21, s2
	v_mov_b32_e32 v1, s14
	v_mov_b32_e32 v2, s15
	s_movk_i32 s14, 0x88
	v_mov_b32_e32 v5, s3
	v_mov_b32_e32 v3, s14
	v_sub_nc_u32_e64 v6, s2, s21 clamp
	v_mov_b32_e32 v4, s15
	flat_store_dword v[1:2], v5
	s_waitcnt_vscnt null, 0x0
	flat_store_dword v[3:4], v6
	s_waitcnt_vscnt null, 0x0
	flat_load_dword v5, v[3:4] glc dlc
	s_waitcnt vmcnt(0)
	v_mov_b32_e32 v3, 0x8c
	v_mov_b32_e32 v4, s15
	s_waitcnt lgkmcnt(0)
	flat_store_dword v[3:4], v5
	s_waitcnt_vscnt null, 0x0
	flat_load_dword v1, v[1:2] glc dlc
	s_waitcnt vmcnt(0)
	v_mov_b32_e32 v3, 0x90
	s_waitcnt lgkmcnt(0)
	flat_store_dword v[3:4], v1
	s_waitcnt_vscnt null, 0x0
	v_mov_b32_e32 v3, 0x80
	v_mov_b32_e32 v1, 0
	flat_store_dword v[3:4], v1
	s_waitcnt_vscnt null, 0x0
.LBB6_5:
	s_or_b32 exec_lo, exec_lo, s1
	s_mov_b64 s[2:3], src_shared_base
	v_mov_b32_e32 v1, 0x80
	v_mov_b32_e32 v2, s3
	s_waitcnt lgkmcnt(0)
	s_barrier
	buffer_gl0_inv
	s_mov_b32 s1, exec_lo
	flat_load_dword v1, v[1:2] glc dlc
	s_waitcnt vmcnt(0) lgkmcnt(0)
	v_cmpx_ne_u32_e32 0, v1
	s_xor_b32 s1, exec_lo, s1
	s_or_saveexec_b32 s22, s1
	v_mov_b32_e32 v1, s6
	s_xor_b32 exec_lo, exec_lo, s22
	s_cbranch_execz .LBB6_18
; %bb.6:
	s_mov_b64 s[2:3], src_shared_base
	s_mov_b32 s15, 0
	v_lshlrev_b32_e32 v15, 2, v0
	s_movk_i32 s2, 0x84
	s_mov_b32 s7, s15
	v_mov_b32_e32 v1, s2
	s_lshl_b64 s[16:17], s[6:7], 2
	v_mov_b32_e32 v2, s3
	s_movk_i32 s2, 0x88
	v_mov_b32_e32 v6, s3
	v_add_nc_u32_e32 v16, -16, v0
	v_add_nc_u32_e32 v17, -4, v15
	s_add_u32 s16, s8, s16
	v_mov_b32_e32 v4, s3
	v_mov_b32_e32 v3, 0x8c
	;; [unrolled: 1-line block ×11, first 2 shown]
	s_addc_u32 s17, s9, s17
	s_add_u32 s18, s4, 40
	s_addc_u32 s19, s5, 0
	s_add_i32 s23, s6, 1
	s_mov_b32 s7, 0
	v_cmp_eq_u32_e32 vcc_lo, 16, v0
	s_branch .LBB6_8
.LBB6_7:                                ;   in Loop: Header=BB6_8 Depth=1
	s_or_b32 exec_lo, exec_lo, s2
	s_waitcnt lgkmcnt(0)
	s_barrier
	buffer_gl0_inv
	flat_load_dword v9, v[11:12] glc dlc
	s_waitcnt vmcnt(0) lgkmcnt(0)
	v_cmp_ne_u32_e64 s1, 0, v9
	s_or_b32 s7, s1, s7
	s_andn2_b32 exec_lo, exec_lo, s7
	s_cbranch_execz .LBB6_17
.LBB6_8:                                ; =>This Inner Loop Header: Depth=1
	flat_load_dword v9, v[1:2] glc dlc
	s_waitcnt vmcnt(0)
	flat_load_dword v13, v[1:2] glc dlc
	s_waitcnt vmcnt(0)
	flat_load_dword v14, v[3:4] glc dlc
	s_waitcnt vmcnt(0)
	flat_load_dword v21, v[5:6] glc dlc
	s_waitcnt vmcnt(0)
	flat_load_dword v22, v[7:8] glc dlc
	s_waitcnt vmcnt(0)
	flat_load_dword v23, v[5:6] glc dlc
	s_waitcnt vmcnt(0) lgkmcnt(3)
	v_sub_nc_u32_e32 v13, v13, v14
	s_waitcnt lgkmcnt(0)
	v_sub_nc_u32_e32 v14, v22, v23
	v_ashrrev_i32_e32 v13, 1, v13
	v_add_nc_u32_e32 v13, v0, v13
	v_sub_nc_u32_e32 v9, v9, v13
	v_ashrrev_i32_e32 v13, 1, v14
	v_mov_b32_e32 v14, 0
	v_add_nc_u32_e32 v9, 16, v9
	v_add3_u32 v13, v21, v16, v13
	v_cmp_gt_i32_e64 s1, s21, v9
	v_cmp_lt_i32_e64 s2, -1, v13
	s_and_b32 s1, s1, s2
	s_and_saveexec_b32 s14, s1
	s_cbranch_execz .LBB6_12
; %bb.9:                                ;   in Loop: Header=BB6_8 Depth=1
	v_cmp_gt_i32_e64 s1, s20, v13
	v_cmp_lt_i32_e64 s2, 0, v9
	v_mov_b32_e32 v14, 1
	s_and_b32 s1, s2, s1
	s_and_saveexec_b32 s2, s1
	s_cbranch_execz .LBB6_11
; %bb.10:                               ;   in Loop: Header=BB6_8 Depth=1
	v_mov_b32_e32 v14, v10
	v_lshlrev_b64 v[21:22], 3, v[9:10]
	v_lshlrev_b64 v[23:24], 3, v[13:14]
	v_add_co_u32 v21, s1, s10, v21
	v_add_co_ci_u32_e64 v22, null, s11, v22, s1
	v_add_co_u32 v23, s1, s12, v23
	v_add_co_ci_u32_e64 v24, null, s13, v24, s1
	global_load_dwordx2 v[21:22], v[21:22], off offset:-8
	global_load_dwordx2 v[23:24], v[23:24], off
	s_waitcnt vmcnt(0)
	v_cmp_le_f64_e64 s1, v[21:22], v[23:24]
	v_cndmask_b32_e64 v14, 0, 1, s1
.LBB6_11:                               ;   in Loop: Header=BB6_8 Depth=1
	s_or_b32 exec_lo, exec_lo, s2
.LBB6_12:                               ;   in Loop: Header=BB6_8 Depth=1
	s_or_b32 exec_lo, exec_lo, s14
	ds_write_b32 v15, v14
	s_waitcnt lgkmcnt(0)
	s_barrier
	buffer_gl0_inv
	s_and_saveexec_b32 s2, s0
	s_cbranch_execz .LBB6_15
; %bb.13:                               ;   in Loop: Header=BB6_8 Depth=1
	ds_read2_b32 v[21:22], v17 offset1:1
	s_waitcnt lgkmcnt(0)
	v_cmp_ne_u32_e64 s1, v22, v21
	s_and_b32 exec_lo, exec_lo, s1
	s_cbranch_execz .LBB6_15
; %bb.14:                               ;   in Loop: Header=BB6_8 Depth=1
	flat_store_dword v[11:12], v18
	s_waitcnt_vscnt null, 0x0
	s_load_dword s1, s[18:19], 0x0
	s_waitcnt lgkmcnt(0)
	s_add_i32 s14, s23, s1
	s_lshl_b64 s[24:25], s[14:15], 2
	s_add_u32 s24, s8, s24
	s_addc_u32 s25, s9, s25
	global_store_dword v10, v9, s[16:17]
	global_store_dword v10, v13, s[24:25]
.LBB6_15:                               ;   in Loop: Header=BB6_8 Depth=1
	s_or_b32 exec_lo, exec_lo, s2
	s_waitcnt_vscnt null, 0x0
	s_barrier
	buffer_gl0_inv
	s_and_saveexec_b32 s2, vcc_lo
	s_cbranch_execz .LBB6_7
; %bb.16:                               ;   in Loop: Header=BB6_8 Depth=1
	ds_read_b32 v14, v10 offset:124
	v_mov_b32_e32 v22, s3
	v_mov_b32_e32 v24, s3
	s_waitcnt lgkmcnt(0)
	v_cmp_eq_u32_e64 s1, 0, v14
	v_cndmask_b32_e64 v21, 0x8c, v19, s1
	v_cndmask_b32_e64 v23, 0x90, v20, s1
	flat_store_dword v[21:22], v9
	s_waitcnt_vscnt null, 0x0
	flat_store_dword v[23:24], v13
	s_waitcnt_vscnt null, 0x0
	s_branch .LBB6_7
.LBB6_17:
	s_or_b32 exec_lo, exec_lo, s7
	v_mov_b32_e32 v1, s6
.LBB6_18:
	s_or_b32 exec_lo, exec_lo, s22
	v_or_b32_e32 v0, v0, v1
	s_mov_b32 s1, 0
	s_mov_b32 s0, exec_lo
	v_cmpx_eq_u32_e32 0, v0
	s_cbranch_execz .LBB6_20
; %bb.19:
	s_load_dword s0, s[4:5], 0x28
	s_mov_b32 s3, s1
	v_mov_b32_e32 v0, 0
	v_mov_b32_e32 v1, s21
	;; [unrolled: 1-line block ×3, first 2 shown]
	global_store_dword v0, v0, s[8:9]
	s_waitcnt lgkmcnt(0)
	s_add_i32 s2, s0, 1
	s_lshl_b64 s[2:3], s[2:3], 2
	s_add_u32 s2, s8, s2
	s_addc_u32 s3, s9, s3
	s_lshl_b64 s[4:5], s[0:1], 2
	global_store_dword v0, v0, s[2:3]
	s_add_u32 s4, s8, s4
	s_addc_u32 s5, s9, s5
	s_lshl_b32 s0, s0, 1
	s_lshl_b64 s[0:1], s[0:1], 2
	s_add_u32 s0, s8, s0
	s_addc_u32 s1, s9, s1
	global_store_dword v0, v1, s[4:5]
	global_store_dword v0, v2, s[0:1] offset:4
.LBB6_20:
	s_endpgm
.LBB6_21:
                                        ; implicit-def: $sgpr2_sgpr3
	s_branch .LBB6_3
	.section	.rodata,"a",@progbits
	.p2align	6, 0x0
	.amdhsa_kernel _Z17workloadDiagonalsIdEvPKT_jS2_jPj
		.amdhsa_group_segment_fixed_size 148
		.amdhsa_private_segment_fixed_size 0
		.amdhsa_kernarg_size 296
		.amdhsa_user_sgpr_count 6
		.amdhsa_user_sgpr_private_segment_buffer 1
		.amdhsa_user_sgpr_dispatch_ptr 0
		.amdhsa_user_sgpr_queue_ptr 0
		.amdhsa_user_sgpr_kernarg_segment_ptr 1
		.amdhsa_user_sgpr_dispatch_id 0
		.amdhsa_user_sgpr_flat_scratch_init 0
		.amdhsa_user_sgpr_private_segment_size 0
		.amdhsa_wavefront_size32 1
		.amdhsa_uses_dynamic_stack 0
		.amdhsa_system_sgpr_private_segment_wavefront_offset 0
		.amdhsa_system_sgpr_workgroup_id_x 1
		.amdhsa_system_sgpr_workgroup_id_y 0
		.amdhsa_system_sgpr_workgroup_id_z 0
		.amdhsa_system_sgpr_workgroup_info 0
		.amdhsa_system_vgpr_workitem_id 0
		.amdhsa_next_free_vgpr 25
		.amdhsa_next_free_sgpr 27
		.amdhsa_reserve_vcc 1
		.amdhsa_reserve_flat_scratch 0
		.amdhsa_float_round_mode_32 0
		.amdhsa_float_round_mode_16_64 0
		.amdhsa_float_denorm_mode_32 3
		.amdhsa_float_denorm_mode_16_64 3
		.amdhsa_dx10_clamp 1
		.amdhsa_ieee_mode 1
		.amdhsa_fp16_overflow 0
		.amdhsa_workgroup_processor_mode 1
		.amdhsa_memory_ordered 1
		.amdhsa_forward_progress 1
		.amdhsa_shared_vgpr_count 0
		.amdhsa_exception_fp_ieee_invalid_op 0
		.amdhsa_exception_fp_denorm_src 0
		.amdhsa_exception_fp_ieee_div_zero 0
		.amdhsa_exception_fp_ieee_overflow 0
		.amdhsa_exception_fp_ieee_underflow 0
		.amdhsa_exception_fp_ieee_inexact 0
		.amdhsa_exception_int_div_zero 0
	.end_amdhsa_kernel
	.section	.text._Z17workloadDiagonalsIdEvPKT_jS2_jPj,"axG",@progbits,_Z17workloadDiagonalsIdEvPKT_jS2_jPj,comdat
.Lfunc_end6:
	.size	_Z17workloadDiagonalsIdEvPKT_jS2_jPj, .Lfunc_end6-_Z17workloadDiagonalsIdEvPKT_jS2_jPj
                                        ; -- End function
	.set _Z17workloadDiagonalsIdEvPKT_jS2_jPj.num_vgpr, 25
	.set _Z17workloadDiagonalsIdEvPKT_jS2_jPj.num_agpr, 0
	.set _Z17workloadDiagonalsIdEvPKT_jS2_jPj.numbered_sgpr, 27
	.set _Z17workloadDiagonalsIdEvPKT_jS2_jPj.num_named_barrier, 0
	.set _Z17workloadDiagonalsIdEvPKT_jS2_jPj.private_seg_size, 0
	.set _Z17workloadDiagonalsIdEvPKT_jS2_jPj.uses_vcc, 1
	.set _Z17workloadDiagonalsIdEvPKT_jS2_jPj.uses_flat_scratch, 0
	.set _Z17workloadDiagonalsIdEvPKT_jS2_jPj.has_dyn_sized_stack, 0
	.set _Z17workloadDiagonalsIdEvPKT_jS2_jPj.has_recursion, 0
	.set _Z17workloadDiagonalsIdEvPKT_jS2_jPj.has_indirect_call, 0
	.section	.AMDGPU.csdata,"",@progbits
; Kernel info:
; codeLenInByte = 1700
; TotalNumSgprs: 29
; NumVgprs: 25
; ScratchSize: 0
; MemoryBound: 0
; FloatMode: 240
; IeeeMode: 1
; LDSByteSize: 148 bytes/workgroup (compile time only)
; SGPRBlocks: 0
; VGPRBlocks: 3
; NumSGPRsForWavesPerEU: 29
; NumVGPRsForWavesPerEU: 25
; Occupancy: 16
; WaveLimiterHint : 1
; COMPUTE_PGM_RSRC2:SCRATCH_EN: 0
; COMPUTE_PGM_RSRC2:USER_SGPR: 6
; COMPUTE_PGM_RSRC2:TRAP_HANDLER: 0
; COMPUTE_PGM_RSRC2:TGID_X_EN: 1
; COMPUTE_PGM_RSRC2:TGID_Y_EN: 0
; COMPUTE_PGM_RSRC2:TGID_Z_EN: 0
; COMPUTE_PGM_RSRC2:TIDIG_COMP_CNT: 0
	.section	.text._Z15mergeSinglePathIdLb0ELb0EEvPKT_jS2_jPKjPS0_j,"axG",@progbits,_Z15mergeSinglePathIdLb0ELb0EEvPKT_jS2_jPKjPS0_j,comdat
	.protected	_Z15mergeSinglePathIdLb0ELb0EEvPKT_jS2_jPKjPS0_j ; -- Begin function _Z15mergeSinglePathIdLb0ELb0EEvPKT_jS2_jPKjPS0_j
	.globl	_Z15mergeSinglePathIdLb0ELb0EEvPKT_jS2_jPKjPS0_j
	.p2align	8
	.type	_Z15mergeSinglePathIdLb0ELb0EEvPKT_jS2_jPKjPS0_j,@function
_Z15mergeSinglePathIdLb0ELb0EEvPKT_jS2_jPKjPS0_j: ; @_Z15mergeSinglePathIdLb0ELb0EEvPKT_jS2_jPKjPS0_j
; %bb.0:
	s_clause 0x2
	s_load_dwordx2 s[10:11], s[4:5], 0x0
	s_load_dwordx2 s[8:9], s[4:5], 0x10
	s_load_dwordx4 s[0:3], s[4:5], 0x20
	v_alignbit_b32 v1, v0, v0, 5
	s_mov_b32 s7, exec_lo
	v_cmpx_lt_i32_e32 1, v1
	s_xor_b32 s7, exec_lo, s7
	s_cbranch_execz .LBB7_8
; %bb.1:
	s_mov_b32 s12, exec_lo
	v_cmpx_lt_i32_e32 2, v1
	s_xor_b32 s12, exec_lo, s12
	s_cbranch_execz .LBB7_5
; %bb.2:
	s_mov_b32 s13, exec_lo
	v_cmpx_eq_u32_e32 3, v1
	s_cbranch_execz .LBB7_4
; %bb.3:
	s_mov_b64 s[14:15], src_shared_base
	s_load_dword s14, s[4:5], 0x38
	s_mov_b32 s17, 0
	v_mov_b32_e32 v1, 0x202c
	v_mov_b32_e32 v3, -1
	v_mov_b32_e32 v4, 0x7fefffff
	v_mov_b32_e32 v2, s15
	;; [unrolled: 1-line block ×3, first 2 shown]
	s_waitcnt lgkmcnt(0)
	s_add_i32 s14, s6, s14
	s_add_i32 s16, s14, 2
	s_lshl_b64 s[16:17], s[16:17], 2
	s_add_u32 s16, s0, s16
	s_addc_u32 s17, s1, s17
	s_load_dword s14, s[16:17], 0x0
	s_waitcnt lgkmcnt(0)
	v_mov_b32_e32 v5, s14
	flat_store_dword v[1:2], v5
	s_waitcnt_vscnt null, 0x0
	ds_write_b64 v6, v[3:4] offset:8216
.LBB7_4:
	s_or_b32 exec_lo, exec_lo, s13
.LBB7_5:
	s_andn2_saveexec_b32 s12, s12
	s_cbranch_execz .LBB7_7
; %bb.6:
	s_load_dword s13, s[4:5], 0x38
	s_mov_b32 s17, 0
	s_mov_b64 s[14:15], src_shared_base
	v_mov_b32_e32 v1, 0x2024
	v_mov_b32_e32 v3, -1
	v_mov_b32_e32 v4, 0x7fefffff
	v_mov_b32_e32 v2, s15
	;; [unrolled: 1-line block ×3, first 2 shown]
	s_waitcnt lgkmcnt(0)
	s_add_i32 s13, s6, s13
	s_add_i32 s16, s13, 1
	s_lshl_b64 s[16:17], s[16:17], 2
	s_add_u32 s16, s0, s16
	s_addc_u32 s17, s1, s17
	s_load_dword s13, s[16:17], 0x0
	s_waitcnt lgkmcnt(0)
	v_mov_b32_e32 v5, s13
	flat_store_dword v[1:2], v5
	s_waitcnt_vscnt null, 0x0
	ds_write_b64 v6, v[3:4] offset:4104
.LBB7_7:
	s_or_b32 exec_lo, exec_lo, s12
                                        ; implicit-def: $vgpr1
.LBB7_8:
	s_andn2_saveexec_b32 s14, s7
	s_cbranch_execz .LBB7_16
; %bb.9:
	s_mov_b32 s13, 0
	s_mov_b32 s7, exec_lo
	v_cmpx_lt_i32_e32 0, v1
	s_xor_b32 s7, exec_lo, s7
	s_cbranch_execz .LBB7_11
; %bb.10:
	s_add_i32 s12, s6, 1
	s_mov_b64 s[16:17], src_shared_base
	s_lshl_b64 s[12:13], s[12:13], 2
	v_mov_b32_e32 v1, 0x2028
	s_waitcnt lgkmcnt(0)
	s_add_u32 s12, s0, s12
	s_addc_u32 s13, s1, s13
	v_mov_b32_e32 v3, 0
	s_load_dword s12, s[12:13], 0x0
	v_mov_b32_e32 v2, s17
	v_mov_b32_e32 v4, 0x100000
	s_waitcnt lgkmcnt(0)
	v_mov_b32_e32 v5, s12
	flat_store_dword v[1:2], v5
	s_waitcnt_vscnt null, 0x0
	ds_write_b64 v3, v[3:4] offset:4112
                                        ; implicit-def: $vgpr1
.LBB7_11:
	s_andn2_saveexec_b32 s12, s7
	s_cbranch_execz .LBB7_15
; %bb.12:
	s_mov_b32 s7, 0
	s_mov_b32 s13, exec_lo
	v_cmpx_eq_u32_e32 0, v1
	s_cbranch_execz .LBB7_14
; %bb.13:
	s_lshl_b64 s[6:7], s[6:7], 2
	s_mov_b64 s[16:17], src_shared_base
	s_waitcnt lgkmcnt(0)
	s_add_u32 s0, s0, s6
	s_addc_u32 s1, s1, s7
	v_mov_b32_e32 v1, 0x2020
	s_load_dword s0, s[0:1], 0x0
	v_mov_b32_e32 v3, 0
	v_mov_b32_e32 v2, s17
	;; [unrolled: 1-line block ×3, first 2 shown]
	s_waitcnt lgkmcnt(0)
	v_mov_b32_e32 v5, s0
	flat_store_dword v[1:2], v5
	s_waitcnt_vscnt null, 0x0
	ds_write_b64 v3, v[3:4]
.LBB7_14:
	s_or_b32 exec_lo, exec_lo, s13
.LBB7_15:
	s_or_b32 exec_lo, exec_lo, s12
.LBB7_16:
	s_or_b32 exec_lo, exec_lo, s14
	v_lshlrev_b32_e32 v22, 3, v0
	v_lshlrev_b32_e32 v20, 2, v0
	;; [unrolled: 1-line block ×3, first 2 shown]
	s_mov_b64 s[6:7], src_shared_base
	v_mov_b32_e32 v4, 0
	s_waitcnt lgkmcnt(0)
	v_add_co_u32 v26, s0, s10, v22
	v_add_co_ci_u32_e64 v27, null, s11, 0, s0
	v_add_co_u32 v28, s0, s8, v22
	v_or_b32_e32 v23, 2, v20
	v_or_b32_e32 v24, 1, v21
	v_mad_u32_u24 v25, v0, 24, v22
	v_mov_b32_e32 v6, s7
	v_add_co_ci_u32_e64 v29, null, s9, 0, s0
	v_mov_b32_e32 v7, 0x2020
	v_mov_b32_e32 v8, s7
	;; [unrolled: 1-line block ×4, first 2 shown]
	v_lshlrev_b32_e32 v30, 3, v20
	v_mov_b32_e32 v5, 0x2024
	v_mov_b32_e32 v11, 0x202c
	s_add_u32 s4, s4, 56
	s_addc_u32 s5, s5, 0
	s_mov_b32 s10, 0
	s_movk_i32 s6, 0x2020
	s_movk_i32 s8, 0x2024
	s_barrier
	v_cmp_eq_u32_e32 vcc_lo, 0x7f, v0
	buffer_gl0_inv
	s_branch .LBB7_19
.LBB7_17:                               ;   in Loop: Header=BB7_19 Depth=1
	s_or_b32 exec_lo, exec_lo, s0
	s_xor_b32 s0, exec_lo, -1
	s_waitcnt lgkmcnt(0)
	s_waitcnt_vscnt null, 0x0
	s_barrier
	buffer_gl0_inv
.LBB7_18:                               ;   in Loop: Header=BB7_19 Depth=1
	s_or_b32 exec_lo, exec_lo, s11
	s_and_b32 s0, exec_lo, s0
	s_or_b32 s10, s0, s10
	s_andn2_b32 exec_lo, exec_lo, s10
	s_cbranch_execz .LBB7_43
.LBB7_19:                               ; =>This Loop Header: Depth=1
                                        ;     Child Loop BB7_24 Depth 2
	flat_load_dword v0, v[7:8] glc dlc
	s_waitcnt vmcnt(0)
	flat_load_dword v1, v[9:10] glc dlc
	s_waitcnt vmcnt(0)
	s_mov_b32 s9, -1
	s_mov_b32 s1, exec_lo
	s_waitcnt lgkmcnt(0)
	v_cmpx_ge_u32_e64 v0, v1
	s_cbranch_execz .LBB7_21
; %bb.20:                               ;   in Loop: Header=BB7_19 Depth=1
	v_mov_b32_e32 v12, v6
	flat_load_dword v0, v[5:6] glc dlc
	s_waitcnt vmcnt(0)
	flat_load_dword v1, v[11:12] glc dlc
	s_waitcnt vmcnt(0) lgkmcnt(0)
	v_cmp_lt_u32_e64 s0, v0, v1
	s_orn2_b32 s9, s0, exec_lo
.LBB7_21:                               ;   in Loop: Header=BB7_19 Depth=1
	s_or_b32 exec_lo, exec_lo, s1
	s_mov_b32 s0, -1
	s_and_saveexec_b32 s11, s9
	s_cbranch_execz .LBB7_18
; %bb.22:                               ;   in Loop: Header=BB7_19 Depth=1
	s_mov_b32 s9, s7
	v_mov_b32_e32 v0, s6
	v_mov_b32_e32 v1, s7
	;; [unrolled: 1-line block ×5, first 2 shown]
	s_mov_b32 s9, 0
	flat_load_dword v3, v[0:1] glc dlc
	s_waitcnt vmcnt(0)
	flat_load_dword v14, v[12:13] glc dlc
	s_waitcnt vmcnt(0)
	s_load_dword s0, s[4:5], 0xc
                                        ; implicit-def: $sgpr12
	s_waitcnt lgkmcnt(0)
	s_and_b32 s0, s0, 0xffff
	s_lshl_b32 s1, s0, 3
	v_add_nc_u32_e32 v39, s1, v22
	v_add_nc_u32_e32 v40, s1, v39
	;; [unrolled: 1-line block ×3, first 2 shown]
	v_lshlrev_b64 v[2:3], 3, v[3:4]
	v_lshlrev_b64 v[14:15], 3, v[14:15]
	v_add_co_u32 v2, s0, v26, v2
	v_add_co_ci_u32_e64 v3, null, v27, v3, s0
	v_add_co_u32 v14, s0, v28, v14
	v_add_co_ci_u32_e64 v15, null, v29, v15, s0
	global_load_dwordx2 v[16:17], v[2:3], off
	v_add_co_u32 v2, s0, v2, s1
	v_add_co_ci_u32_e64 v3, null, 0, v3, s0
	global_load_dwordx2 v[18:19], v[14:15], off
	;; [unrolled: 3-line block ×3, first 2 shown]
	v_add_co_u32 v2, s0, v2, s1
	v_add_co_ci_u32_e64 v3, null, 0, v3, s0
	v_add_co_u32 v33, s0, v14, s1
	v_add_co_ci_u32_e64 v34, null, 0, v15, s0
	;; [unrolled: 2-line block ×4, first 2 shown]
	global_load_dwordx2 v[14:15], v[14:15], off
	global_load_dwordx2 v[2:3], v[2:3], off
	;; [unrolled: 1-line block ×5, first 2 shown]
	s_mov_b32 s1, 0
	s_waitcnt vmcnt(7)
	ds_write_b64 v22, v[16:17] offset:8
	s_waitcnt vmcnt(6)
	ds_write_b64 v22, v[18:19] offset:4120
	;; [unrolled: 2-line block ×8, first 2 shown]
	flat_load_dword v3, v[0:1] glc dlc
	s_waitcnt vmcnt(0)
	flat_load_dword v0, v[12:13] glc dlc
	s_waitcnt vmcnt(0)
	v_mov_b32_e32 v1, v21
	v_mov_b32_e32 v2, v24
	s_waitcnt lgkmcnt(0)
	s_barrier
	buffer_gl0_inv
	s_inst_prefetch 0x1
	s_branch .LBB7_24
	.p2align	6
.LBB7_23:                               ;   in Loop: Header=BB7_24 Depth=2
	s_or_b32 exec_lo, exec_lo, s12
	s_and_b32 s0, exec_lo, s9
	s_mov_b32 s9, 0
	s_or_b32 s1, s0, s1
                                        ; implicit-def: $sgpr12
	s_andn2_b32 exec_lo, exec_lo, s1
	s_cbranch_execz .LBB7_29
.LBB7_24:                               ;   Parent Loop BB7_19 Depth=1
                                        ; =>  This Inner Loop Header: Depth=2
	v_mov_b32_e32 v16, v2
	v_add_nc_u32_e32 v1, 1, v1
	s_or_b32 s12, s12, exec_lo
	s_mov_b32 s13, exec_lo
	v_not_b32_e32 v2, v16
	v_lshlrev_b32_e32 v17, 3, v16
	v_lshrrev_b32_e32 v1, 1, v1
	v_lshl_add_u32 v14, v2, 3, v25
                                        ; implicit-def: $vgpr2
	ds_read_b64 v[12:13], v17
	ds_read_b64 v[18:19], v14 offset:4128
	s_waitcnt lgkmcnt(0)
	v_cmpx_ngt_f64_e32 v[12:13], v[18:19]
; %bb.25:                               ;   in Loop: Header=BB7_24 Depth=2
	v_add_nc_u32_e32 v2, v1, v16
	s_andn2_b32 s12, s12, exec_lo
; %bb.26:                               ;   in Loop: Header=BB7_24 Depth=2
	s_or_b32 exec_lo, exec_lo, s13
	s_and_b32 s0, exec_lo, s12
	s_or_b32 s9, s0, s9
	s_andn2_b32 exec_lo, exec_lo, s9
	s_cbranch_execnz .LBB7_24
; %bb.27:                               ;   in Loop: Header=BB7_24 Depth=2
	s_or_b32 exec_lo, exec_lo, s9
	v_add_nc_u32_e32 v2, -8, v17
	s_mov_b32 s9, -1
	s_mov_b32 s12, exec_lo
	ds_read_b64 v[18:19], v2
	ds_read_b64 v[14:15], v14 offset:4136
                                        ; implicit-def: $vgpr2
	s_waitcnt lgkmcnt(0)
	v_cmpx_nle_f64_e32 v[18:19], v[14:15]
	s_cbranch_execz .LBB7_23
; %bb.28:                               ;   in Loop: Header=BB7_24 Depth=2
	v_sub_nc_u32_e32 v2, v16, v1
	s_xor_b32 s9, exec_lo, -1
	s_branch .LBB7_23
.LBB7_29:                               ;   in Loop: Header=BB7_19 Depth=1
	s_inst_prefetch 0x2
	s_or_b32 exec_lo, exec_lo, s1
	v_sub_nc_u32_e32 v1, v20, v16
                                        ; implicit-def: $vgpr14_vgpr15
                                        ; implicit-def: $vgpr33
	v_lshlrev_b32_e32 v32, 3, v1
	ds_read_b64 v[1:2], v32 offset:4128
	s_waitcnt lgkmcnt(0)
	v_cmp_ngt_f64_e64 s0, v[12:13], v[1:2]
	s_and_saveexec_b32 s1, s0
	s_xor_b32 s0, exec_lo, s1
; %bb.30:                               ;   in Loop: Header=BB7_19 Depth=1
	ds_read_b64 v[14:15], v17 offset:8
	v_add_nc_u32_e32 v33, 1, v16
                                        ; implicit-def: $vgpr32
; %bb.31:                               ;   in Loop: Header=BB7_19 Depth=1
	s_or_saveexec_b32 s0, s0
	v_mov_b32_e32 v19, v2
	v_sub_nc_u32_e32 v31, v23, v16
	v_mov_b32_e32 v18, v1
	s_xor_b32 exec_lo, exec_lo, s0
	s_cbranch_execz .LBB7_33
; %bb.32:                               ;   in Loop: Header=BB7_19 Depth=1
	ds_read_b64 v[18:19], v32 offset:4136
	s_waitcnt lgkmcnt(1)
	v_mov_b32_e32 v15, v13
	v_mov_b32_e32 v14, v12
	;; [unrolled: 1-line block ×3, first 2 shown]
	v_add_nc_u32_e32 v31, 1, v31
	v_mov_b32_e32 v33, v16
	v_mov_b32_e32 v12, v1
.LBB7_33:                               ;   in Loop: Header=BB7_19 Depth=1
	s_or_b32 exec_lo, exec_lo, s0
	v_mov_b32_e32 v1, v4
	v_lshlrev_b64 v[2:3], 3, v[3:4]
	s_waitcnt lgkmcnt(0)
	v_cmp_ngt_f64_e64 s0, v[14:15], v[18:19]
                                        ; implicit-def: $vgpr32
	v_lshlrev_b64 v[0:1], 3, v[0:1]
	v_add_co_u32 v2, s1, s2, v2
	v_add_co_ci_u32_e64 v3, null, s3, v3, s1
	v_add_co_u32 v0, s1, v2, v0
	v_add_co_ci_u32_e64 v1, null, v3, v1, s1
	;; [unrolled: 2-line block ×3, first 2 shown]
                                        ; implicit-def: $vgpr0_vgpr1
	global_store_dwordx2 v[16:17], v[12:13], off
	s_and_saveexec_b32 s1, s0
	s_xor_b32 s0, exec_lo, s1
; %bb.34:                               ;   in Loop: Header=BB7_19 Depth=1
	v_lshlrev_b32_e32 v0, 3, v33
	v_add_nc_u32_e32 v32, 1, v33
                                        ; implicit-def: $vgpr33
	ds_read_b64 v[0:1], v0 offset:8
; %bb.35:                               ;   in Loop: Header=BB7_19 Depth=1
	s_or_saveexec_b32 s0, s0
	v_mov_b32_e32 v2, v18
	v_mov_b32_e32 v3, v19
	s_xor_b32 exec_lo, exec_lo, s0
	s_cbranch_execz .LBB7_37
; %bb.36:                               ;   in Loop: Header=BB7_19 Depth=1
	s_waitcnt lgkmcnt(0)
	v_lshlrev_b32_e32 v0, 3, v31
	v_add_nc_u32_e32 v31, 1, v31
	v_mov_b32_e32 v32, v33
	ds_read_b64 v[2:3], v0 offset:4120
	v_mov_b32_e32 v0, v14
	v_mov_b32_e32 v1, v15
	v_mov_b32_e32 v14, v18
	v_mov_b32_e32 v15, v19
.LBB7_37:                               ;   in Loop: Header=BB7_19 Depth=1
	s_or_b32 exec_lo, exec_lo, s0
	s_waitcnt lgkmcnt(0)
	v_cmp_ngt_f64_e64 s0, v[0:1], v[2:3]
	global_store_dwordx2 v[16:17], v[14:15], off offset:8
                                        ; implicit-def: $vgpr12_vgpr13
	s_and_saveexec_b32 s1, s0
	s_xor_b32 s0, exec_lo, s1
; %bb.38:                               ;   in Loop: Header=BB7_19 Depth=1
	v_lshlrev_b32_e32 v12, 3, v32
	v_add_nc_u32_e32 v31, -1, v31
	ds_read_b64 v[12:13], v12 offset:8
; %bb.39:                               ;   in Loop: Header=BB7_19 Depth=1
	s_or_saveexec_b32 s0, s0
	v_mov_b32_e32 v15, v3
	v_mov_b32_e32 v14, v2
	s_xor_b32 exec_lo, exec_lo, s0
	s_cbranch_execz .LBB7_41
; %bb.40:                               ;   in Loop: Header=BB7_19 Depth=1
	s_waitcnt lgkmcnt(0)
	v_lshlrev_b32_e32 v12, 3, v31
	v_add_nc_u32_e32 v32, -1, v32
	ds_read_b64 v[14:15], v12 offset:4120
	v_mov_b32_e32 v13, v1
	v_mov_b32_e32 v12, v0
	;; [unrolled: 1-line block ×4, first 2 shown]
.LBB7_41:                               ;   in Loop: Header=BB7_19 Depth=1
	s_or_b32 exec_lo, exec_lo, s0
	s_waitcnt lgkmcnt(0)
	v_cmp_gt_f64_e64 s0, v[12:13], v[14:15]
	v_cndmask_b32_e64 v3, v13, v15, s0
	v_cndmask_b32_e64 v2, v12, v14, s0
	global_store_dwordx4 v[16:17], v[0:3], off offset:16
	s_and_saveexec_b32 s0, vcc_lo
	s_cbranch_execz .LBB7_17
; %bb.42:                               ;   in Loop: Header=BB7_19 Depth=1
	v_mov_b32_e32 v0, s6
	v_mov_b32_e32 v1, s7
	s_mov_b32 s9, s7
	flat_load_dword v2, v[0:1] glc dlc
	s_waitcnt vmcnt(0) lgkmcnt(0)
	v_add_nc_u32_e32 v12, v2, v32
	v_mov_b32_e32 v2, s8
	v_mov_b32_e32 v3, s9
	flat_store_dword v[0:1], v12
	s_waitcnt_vscnt null, 0x0
	flat_load_dword v0, v[2:3] glc dlc
	s_waitcnt vmcnt(0) lgkmcnt(0)
	v_add_nc_u32_e32 v0, v0, v31
	flat_store_dword v[2:3], v0
	s_waitcnt_vscnt null, 0x0
	s_branch .LBB7_17
.LBB7_43:
	s_endpgm
	.section	.rodata,"a",@progbits
	.p2align	6, 0x0
	.amdhsa_kernel _Z15mergeSinglePathIdLb0ELb0EEvPKT_jS2_jPKjPS0_j
		.amdhsa_group_segment_fixed_size 8240
		.amdhsa_private_segment_fixed_size 0
		.amdhsa_kernarg_size 312
		.amdhsa_user_sgpr_count 6
		.amdhsa_user_sgpr_private_segment_buffer 1
		.amdhsa_user_sgpr_dispatch_ptr 0
		.amdhsa_user_sgpr_queue_ptr 0
		.amdhsa_user_sgpr_kernarg_segment_ptr 1
		.amdhsa_user_sgpr_dispatch_id 0
		.amdhsa_user_sgpr_flat_scratch_init 0
		.amdhsa_user_sgpr_private_segment_size 0
		.amdhsa_wavefront_size32 1
		.amdhsa_uses_dynamic_stack 0
		.amdhsa_system_sgpr_private_segment_wavefront_offset 0
		.amdhsa_system_sgpr_workgroup_id_x 1
		.amdhsa_system_sgpr_workgroup_id_y 0
		.amdhsa_system_sgpr_workgroup_id_z 0
		.amdhsa_system_sgpr_workgroup_info 0
		.amdhsa_system_vgpr_workitem_id 0
		.amdhsa_next_free_vgpr 42
		.amdhsa_next_free_sgpr 18
		.amdhsa_reserve_vcc 1
		.amdhsa_reserve_flat_scratch 0
		.amdhsa_float_round_mode_32 0
		.amdhsa_float_round_mode_16_64 0
		.amdhsa_float_denorm_mode_32 3
		.amdhsa_float_denorm_mode_16_64 3
		.amdhsa_dx10_clamp 1
		.amdhsa_ieee_mode 1
		.amdhsa_fp16_overflow 0
		.amdhsa_workgroup_processor_mode 1
		.amdhsa_memory_ordered 1
		.amdhsa_forward_progress 1
		.amdhsa_shared_vgpr_count 0
		.amdhsa_exception_fp_ieee_invalid_op 0
		.amdhsa_exception_fp_denorm_src 0
		.amdhsa_exception_fp_ieee_div_zero 0
		.amdhsa_exception_fp_ieee_overflow 0
		.amdhsa_exception_fp_ieee_underflow 0
		.amdhsa_exception_fp_ieee_inexact 0
		.amdhsa_exception_int_div_zero 0
	.end_amdhsa_kernel
	.section	.text._Z15mergeSinglePathIdLb0ELb0EEvPKT_jS2_jPKjPS0_j,"axG",@progbits,_Z15mergeSinglePathIdLb0ELb0EEvPKT_jS2_jPKjPS0_j,comdat
.Lfunc_end7:
	.size	_Z15mergeSinglePathIdLb0ELb0EEvPKT_jS2_jPKjPS0_j, .Lfunc_end7-_Z15mergeSinglePathIdLb0ELb0EEvPKT_jS2_jPKjPS0_j
                                        ; -- End function
	.set _Z15mergeSinglePathIdLb0ELb0EEvPKT_jS2_jPKjPS0_j.num_vgpr, 42
	.set _Z15mergeSinglePathIdLb0ELb0EEvPKT_jS2_jPKjPS0_j.num_agpr, 0
	.set _Z15mergeSinglePathIdLb0ELb0EEvPKT_jS2_jPKjPS0_j.numbered_sgpr, 18
	.set _Z15mergeSinglePathIdLb0ELb0EEvPKT_jS2_jPKjPS0_j.num_named_barrier, 0
	.set _Z15mergeSinglePathIdLb0ELb0EEvPKT_jS2_jPKjPS0_j.private_seg_size, 0
	.set _Z15mergeSinglePathIdLb0ELb0EEvPKT_jS2_jPKjPS0_j.uses_vcc, 1
	.set _Z15mergeSinglePathIdLb0ELb0EEvPKT_jS2_jPKjPS0_j.uses_flat_scratch, 0
	.set _Z15mergeSinglePathIdLb0ELb0EEvPKT_jS2_jPKjPS0_j.has_dyn_sized_stack, 0
	.set _Z15mergeSinglePathIdLb0ELb0EEvPKT_jS2_jPKjPS0_j.has_recursion, 0
	.set _Z15mergeSinglePathIdLb0ELb0EEvPKT_jS2_jPKjPS0_j.has_indirect_call, 0
	.section	.AMDGPU.csdata,"",@progbits
; Kernel info:
; codeLenInByte = 2040
; TotalNumSgprs: 20
; NumVgprs: 42
; ScratchSize: 0
; MemoryBound: 0
; FloatMode: 240
; IeeeMode: 1
; LDSByteSize: 8240 bytes/workgroup (compile time only)
; SGPRBlocks: 0
; VGPRBlocks: 5
; NumSGPRsForWavesPerEU: 20
; NumVGPRsForWavesPerEU: 42
; Occupancy: 16
; WaveLimiterHint : 1
; COMPUTE_PGM_RSRC2:SCRATCH_EN: 0
; COMPUTE_PGM_RSRC2:USER_SGPR: 6
; COMPUTE_PGM_RSRC2:TRAP_HANDLER: 0
; COMPUTE_PGM_RSRC2:TGID_X_EN: 1
; COMPUTE_PGM_RSRC2:TGID_Y_EN: 0
; COMPUTE_PGM_RSRC2:TGID_Z_EN: 0
; COMPUTE_PGM_RSRC2:TIDIG_COMP_CNT: 0
	.section	.AMDGPU.gpr_maximums,"",@progbits
	.set amdgpu.max_num_vgpr, 0
	.set amdgpu.max_num_agpr, 0
	.set amdgpu.max_num_sgpr, 0
	.section	.AMDGPU.csdata,"",@progbits
	.type	__hip_cuid_17d9d9d038a9801d,@object ; @__hip_cuid_17d9d9d038a9801d
	.section	.bss,"aw",@nobits
	.globl	__hip_cuid_17d9d9d038a9801d
__hip_cuid_17d9d9d038a9801d:
	.byte	0                               ; 0x0
	.size	__hip_cuid_17d9d9d038a9801d, 1

	.ident	"AMD clang version 22.0.0git (https://github.com/RadeonOpenCompute/llvm-project roc-7.2.4 26084 f58b06dce1f9c15707c5f808fd002e18c2accf7e)"
	.section	".note.GNU-stack","",@progbits
	.addrsig
	.addrsig_sym __hip_cuid_17d9d9d038a9801d
	.amdgpu_metadata
---
amdhsa.kernels:
  - .args:
      - .actual_access:  read_only
        .address_space:  global
        .offset:         0
        .size:           8
        .value_kind:     global_buffer
      - .offset:         8
        .size:           4
        .value_kind:     by_value
      - .actual_access:  read_only
        .address_space:  global
        .offset:         16
        .size:           8
        .value_kind:     global_buffer
      - .offset:         24
        .size:           4
        .value_kind:     by_value
      - .actual_access:  write_only
        .address_space:  global
        .offset:         32
        .size:           8
        .value_kind:     global_buffer
      - .offset:         40
        .size:           4
        .value_kind:     hidden_block_count_x
      - .offset:         44
        .size:           4
        .value_kind:     hidden_block_count_y
      - .offset:         48
        .size:           4
        .value_kind:     hidden_block_count_z
      - .offset:         52
        .size:           2
        .value_kind:     hidden_group_size_x
      - .offset:         54
        .size:           2
        .value_kind:     hidden_group_size_y
      - .offset:         56
        .size:           2
        .value_kind:     hidden_group_size_z
      - .offset:         58
        .size:           2
        .value_kind:     hidden_remainder_x
      - .offset:         60
        .size:           2
        .value_kind:     hidden_remainder_y
      - .offset:         62
        .size:           2
        .value_kind:     hidden_remainder_z
      - .offset:         80
        .size:           8
        .value_kind:     hidden_global_offset_x
      - .offset:         88
        .size:           8
        .value_kind:     hidden_global_offset_y
      - .offset:         96
        .size:           8
        .value_kind:     hidden_global_offset_z
      - .offset:         104
        .size:           2
        .value_kind:     hidden_grid_dims
    .group_segment_fixed_size: 148
    .kernarg_segment_align: 8
    .kernarg_segment_size: 296
    .language:       OpenCL C
    .language_version:
      - 2
      - 0
    .max_flat_workgroup_size: 1024
    .name:           _Z17workloadDiagonalsIjEvPKT_jS2_jPj
    .private_segment_fixed_size: 0
    .sgpr_count:     29
    .sgpr_spill_count: 0
    .symbol:         _Z17workloadDiagonalsIjEvPKT_jS2_jPj.kd
    .uniform_work_group_size: 1
    .uses_dynamic_stack: false
    .vgpr_count:     25
    .vgpr_spill_count: 0
    .wavefront_size: 32
    .workgroup_processor_mode: 1
  - .args:
      - .actual_access:  read_only
        .address_space:  global
        .offset:         0
        .size:           8
        .value_kind:     global_buffer
      - .offset:         8
        .size:           4
        .value_kind:     by_value
      - .actual_access:  read_only
        .address_space:  global
        .offset:         16
        .size:           8
        .value_kind:     global_buffer
      - .offset:         24
        .size:           4
        .value_kind:     by_value
      - .actual_access:  read_only
        .address_space:  global
        .offset:         32
        .size:           8
        .value_kind:     global_buffer
      - .actual_access:  write_only
        .address_space:  global
        .offset:         40
        .size:           8
        .value_kind:     global_buffer
      - .offset:         48
        .size:           4
        .value_kind:     by_value
      - .offset:         56
        .size:           4
        .value_kind:     hidden_block_count_x
      - .offset:         60
        .size:           4
        .value_kind:     hidden_block_count_y
      - .offset:         64
        .size:           4
        .value_kind:     hidden_block_count_z
      - .offset:         68
        .size:           2
        .value_kind:     hidden_group_size_x
      - .offset:         70
        .size:           2
        .value_kind:     hidden_group_size_y
      - .offset:         72
        .size:           2
        .value_kind:     hidden_group_size_z
      - .offset:         74
        .size:           2
        .value_kind:     hidden_remainder_x
      - .offset:         76
        .size:           2
        .value_kind:     hidden_remainder_y
      - .offset:         78
        .size:           2
        .value_kind:     hidden_remainder_z
      - .offset:         96
        .size:           8
        .value_kind:     hidden_global_offset_x
      - .offset:         104
        .size:           8
        .value_kind:     hidden_global_offset_y
      - .offset:         112
        .size:           8
        .value_kind:     hidden_global_offset_z
      - .offset:         120
        .size:           2
        .value_kind:     hidden_grid_dims
    .group_segment_fixed_size: 4128
    .kernarg_segment_align: 8
    .kernarg_segment_size: 312
    .language:       OpenCL C
    .language_version:
      - 2
      - 0
    .max_flat_workgroup_size: 1024
    .name:           _Z15mergeSinglePathIjLb0ELb0EEvPKT_jS2_jPKjPS0_j
    .private_segment_fixed_size: 0
    .sgpr_count:     20
    .sgpr_spill_count: 0
    .symbol:         _Z15mergeSinglePathIjLb0ELb0EEvPKT_jS2_jPKjPS0_j.kd
    .uniform_work_group_size: 1
    .uses_dynamic_stack: false
    .vgpr_count:     35
    .vgpr_spill_count: 0
    .wavefront_size: 32
    .workgroup_processor_mode: 1
  - .args:
      - .actual_access:  read_only
        .address_space:  global
        .offset:         0
        .size:           8
        .value_kind:     global_buffer
      - .offset:         8
        .size:           4
        .value_kind:     by_value
      - .actual_access:  read_only
        .address_space:  global
        .offset:         16
        .size:           8
        .value_kind:     global_buffer
      - .offset:         24
        .size:           4
        .value_kind:     by_value
      - .actual_access:  write_only
        .address_space:  global
        .offset:         32
        .size:           8
        .value_kind:     global_buffer
      - .offset:         40
        .size:           4
        .value_kind:     hidden_block_count_x
      - .offset:         44
        .size:           4
        .value_kind:     hidden_block_count_y
      - .offset:         48
        .size:           4
        .value_kind:     hidden_block_count_z
      - .offset:         52
        .size:           2
        .value_kind:     hidden_group_size_x
      - .offset:         54
        .size:           2
        .value_kind:     hidden_group_size_y
      - .offset:         56
        .size:           2
        .value_kind:     hidden_group_size_z
      - .offset:         58
        .size:           2
        .value_kind:     hidden_remainder_x
      - .offset:         60
        .size:           2
        .value_kind:     hidden_remainder_y
      - .offset:         62
        .size:           2
        .value_kind:     hidden_remainder_z
      - .offset:         80
        .size:           8
        .value_kind:     hidden_global_offset_x
      - .offset:         88
        .size:           8
        .value_kind:     hidden_global_offset_y
      - .offset:         96
        .size:           8
        .value_kind:     hidden_global_offset_z
      - .offset:         104
        .size:           2
        .value_kind:     hidden_grid_dims
    .group_segment_fixed_size: 148
    .kernarg_segment_align: 8
    .kernarg_segment_size: 296
    .language:       OpenCL C
    .language_version:
      - 2
      - 0
    .max_flat_workgroup_size: 1024
    .name:           _Z17workloadDiagonalsIfEvPKT_jS2_jPj
    .private_segment_fixed_size: 0
    .sgpr_count:     29
    .sgpr_spill_count: 0
    .symbol:         _Z17workloadDiagonalsIfEvPKT_jS2_jPj.kd
    .uniform_work_group_size: 1
    .uses_dynamic_stack: false
    .vgpr_count:     25
    .vgpr_spill_count: 0
    .wavefront_size: 32
    .workgroup_processor_mode: 1
  - .args:
      - .actual_access:  read_only
        .address_space:  global
        .offset:         0
        .size:           8
        .value_kind:     global_buffer
      - .offset:         8
        .size:           4
        .value_kind:     by_value
      - .actual_access:  read_only
        .address_space:  global
        .offset:         16
        .size:           8
        .value_kind:     global_buffer
      - .offset:         24
        .size:           4
        .value_kind:     by_value
      - .actual_access:  read_only
        .address_space:  global
        .offset:         32
        .size:           8
        .value_kind:     global_buffer
      - .actual_access:  write_only
        .address_space:  global
        .offset:         40
        .size:           8
        .value_kind:     global_buffer
      - .offset:         48
        .size:           4
        .value_kind:     by_value
      - .offset:         56
        .size:           4
        .value_kind:     hidden_block_count_x
      - .offset:         60
        .size:           4
        .value_kind:     hidden_block_count_y
      - .offset:         64
        .size:           4
        .value_kind:     hidden_block_count_z
      - .offset:         68
        .size:           2
        .value_kind:     hidden_group_size_x
      - .offset:         70
        .size:           2
        .value_kind:     hidden_group_size_y
      - .offset:         72
        .size:           2
        .value_kind:     hidden_group_size_z
      - .offset:         74
        .size:           2
        .value_kind:     hidden_remainder_x
      - .offset:         76
        .size:           2
        .value_kind:     hidden_remainder_y
      - .offset:         78
        .size:           2
        .value_kind:     hidden_remainder_z
      - .offset:         96
        .size:           8
        .value_kind:     hidden_global_offset_x
      - .offset:         104
        .size:           8
        .value_kind:     hidden_global_offset_y
      - .offset:         112
        .size:           8
        .value_kind:     hidden_global_offset_z
      - .offset:         120
        .size:           2
        .value_kind:     hidden_grid_dims
    .group_segment_fixed_size: 4128
    .kernarg_segment_align: 8
    .kernarg_segment_size: 312
    .language:       OpenCL C
    .language_version:
      - 2
      - 0
    .max_flat_workgroup_size: 1024
    .name:           _Z15mergeSinglePathIfLb0ELb0EEvPKT_jS2_jPKjPS0_j
    .private_segment_fixed_size: 0
    .sgpr_count:     20
    .sgpr_spill_count: 0
    .symbol:         _Z15mergeSinglePathIfLb0ELb0EEvPKT_jS2_jPKjPS0_j.kd
    .uniform_work_group_size: 1
    .uses_dynamic_stack: false
    .vgpr_count:     35
    .vgpr_spill_count: 0
    .wavefront_size: 32
    .workgroup_processor_mode: 1
  - .args:
      - .actual_access:  read_only
        .address_space:  global
        .offset:         0
        .size:           8
        .value_kind:     global_buffer
      - .offset:         8
        .size:           4
        .value_kind:     by_value
      - .actual_access:  read_only
        .address_space:  global
        .offset:         16
        .size:           8
        .value_kind:     global_buffer
      - .offset:         24
        .size:           4
        .value_kind:     by_value
      - .actual_access:  write_only
        .address_space:  global
        .offset:         32
        .size:           8
        .value_kind:     global_buffer
      - .offset:         40
        .size:           4
        .value_kind:     hidden_block_count_x
      - .offset:         44
        .size:           4
        .value_kind:     hidden_block_count_y
      - .offset:         48
        .size:           4
        .value_kind:     hidden_block_count_z
      - .offset:         52
        .size:           2
        .value_kind:     hidden_group_size_x
      - .offset:         54
        .size:           2
        .value_kind:     hidden_group_size_y
      - .offset:         56
        .size:           2
        .value_kind:     hidden_group_size_z
      - .offset:         58
        .size:           2
        .value_kind:     hidden_remainder_x
      - .offset:         60
        .size:           2
        .value_kind:     hidden_remainder_y
      - .offset:         62
        .size:           2
        .value_kind:     hidden_remainder_z
      - .offset:         80
        .size:           8
        .value_kind:     hidden_global_offset_x
      - .offset:         88
        .size:           8
        .value_kind:     hidden_global_offset_y
      - .offset:         96
        .size:           8
        .value_kind:     hidden_global_offset_z
      - .offset:         104
        .size:           2
        .value_kind:     hidden_grid_dims
    .group_segment_fixed_size: 148
    .kernarg_segment_align: 8
    .kernarg_segment_size: 296
    .language:       OpenCL C
    .language_version:
      - 2
      - 0
    .max_flat_workgroup_size: 1024
    .name:           _Z17workloadDiagonalsImEvPKT_jS2_jPj
    .private_segment_fixed_size: 0
    .sgpr_count:     29
    .sgpr_spill_count: 0
    .symbol:         _Z17workloadDiagonalsImEvPKT_jS2_jPj.kd
    .uniform_work_group_size: 1
    .uses_dynamic_stack: false
    .vgpr_count:     25
    .vgpr_spill_count: 0
    .wavefront_size: 32
    .workgroup_processor_mode: 1
  - .args:
      - .actual_access:  read_only
        .address_space:  global
        .offset:         0
        .size:           8
        .value_kind:     global_buffer
      - .offset:         8
        .size:           4
        .value_kind:     by_value
      - .actual_access:  read_only
        .address_space:  global
        .offset:         16
        .size:           8
        .value_kind:     global_buffer
      - .offset:         24
        .size:           4
        .value_kind:     by_value
      - .actual_access:  read_only
        .address_space:  global
        .offset:         32
        .size:           8
        .value_kind:     global_buffer
      - .actual_access:  write_only
        .address_space:  global
        .offset:         40
        .size:           8
        .value_kind:     global_buffer
      - .offset:         48
        .size:           4
        .value_kind:     by_value
      - .offset:         56
        .size:           4
        .value_kind:     hidden_block_count_x
      - .offset:         60
        .size:           4
        .value_kind:     hidden_block_count_y
      - .offset:         64
        .size:           4
        .value_kind:     hidden_block_count_z
      - .offset:         68
        .size:           2
        .value_kind:     hidden_group_size_x
      - .offset:         70
        .size:           2
        .value_kind:     hidden_group_size_y
      - .offset:         72
        .size:           2
        .value_kind:     hidden_group_size_z
      - .offset:         74
        .size:           2
        .value_kind:     hidden_remainder_x
      - .offset:         76
        .size:           2
        .value_kind:     hidden_remainder_y
      - .offset:         78
        .size:           2
        .value_kind:     hidden_remainder_z
      - .offset:         96
        .size:           8
        .value_kind:     hidden_global_offset_x
      - .offset:         104
        .size:           8
        .value_kind:     hidden_global_offset_y
      - .offset:         112
        .size:           8
        .value_kind:     hidden_global_offset_z
      - .offset:         120
        .size:           2
        .value_kind:     hidden_grid_dims
    .group_segment_fixed_size: 8240
    .kernarg_segment_align: 8
    .kernarg_segment_size: 312
    .language:       OpenCL C
    .language_version:
      - 2
      - 0
    .max_flat_workgroup_size: 1024
    .name:           _Z15mergeSinglePathImLb0ELb0EEvPKT_jS2_jPKjPS0_j
    .private_segment_fixed_size: 0
    .sgpr_count:     20
    .sgpr_spill_count: 0
    .symbol:         _Z15mergeSinglePathImLb0ELb0EEvPKT_jS2_jPKjPS0_j.kd
    .uniform_work_group_size: 1
    .uses_dynamic_stack: false
    .vgpr_count:     42
    .vgpr_spill_count: 0
    .wavefront_size: 32
    .workgroup_processor_mode: 1
  - .args:
      - .actual_access:  read_only
        .address_space:  global
        .offset:         0
        .size:           8
        .value_kind:     global_buffer
      - .offset:         8
        .size:           4
        .value_kind:     by_value
      - .actual_access:  read_only
        .address_space:  global
        .offset:         16
        .size:           8
        .value_kind:     global_buffer
      - .offset:         24
        .size:           4
        .value_kind:     by_value
      - .actual_access:  write_only
        .address_space:  global
        .offset:         32
        .size:           8
        .value_kind:     global_buffer
      - .offset:         40
        .size:           4
        .value_kind:     hidden_block_count_x
      - .offset:         44
        .size:           4
        .value_kind:     hidden_block_count_y
      - .offset:         48
        .size:           4
        .value_kind:     hidden_block_count_z
      - .offset:         52
        .size:           2
        .value_kind:     hidden_group_size_x
      - .offset:         54
        .size:           2
        .value_kind:     hidden_group_size_y
      - .offset:         56
        .size:           2
        .value_kind:     hidden_group_size_z
      - .offset:         58
        .size:           2
        .value_kind:     hidden_remainder_x
      - .offset:         60
        .size:           2
        .value_kind:     hidden_remainder_y
      - .offset:         62
        .size:           2
        .value_kind:     hidden_remainder_z
      - .offset:         80
        .size:           8
        .value_kind:     hidden_global_offset_x
      - .offset:         88
        .size:           8
        .value_kind:     hidden_global_offset_y
      - .offset:         96
        .size:           8
        .value_kind:     hidden_global_offset_z
      - .offset:         104
        .size:           2
        .value_kind:     hidden_grid_dims
    .group_segment_fixed_size: 148
    .kernarg_segment_align: 8
    .kernarg_segment_size: 296
    .language:       OpenCL C
    .language_version:
      - 2
      - 0
    .max_flat_workgroup_size: 1024
    .name:           _Z17workloadDiagonalsIdEvPKT_jS2_jPj
    .private_segment_fixed_size: 0
    .sgpr_count:     29
    .sgpr_spill_count: 0
    .symbol:         _Z17workloadDiagonalsIdEvPKT_jS2_jPj.kd
    .uniform_work_group_size: 1
    .uses_dynamic_stack: false
    .vgpr_count:     25
    .vgpr_spill_count: 0
    .wavefront_size: 32
    .workgroup_processor_mode: 1
  - .args:
      - .actual_access:  read_only
        .address_space:  global
        .offset:         0
        .size:           8
        .value_kind:     global_buffer
      - .offset:         8
        .size:           4
        .value_kind:     by_value
      - .actual_access:  read_only
        .address_space:  global
        .offset:         16
        .size:           8
        .value_kind:     global_buffer
      - .offset:         24
        .size:           4
        .value_kind:     by_value
      - .actual_access:  read_only
        .address_space:  global
        .offset:         32
        .size:           8
        .value_kind:     global_buffer
      - .actual_access:  write_only
        .address_space:  global
        .offset:         40
        .size:           8
        .value_kind:     global_buffer
      - .offset:         48
        .size:           4
        .value_kind:     by_value
      - .offset:         56
        .size:           4
        .value_kind:     hidden_block_count_x
      - .offset:         60
        .size:           4
        .value_kind:     hidden_block_count_y
      - .offset:         64
        .size:           4
        .value_kind:     hidden_block_count_z
      - .offset:         68
        .size:           2
        .value_kind:     hidden_group_size_x
      - .offset:         70
        .size:           2
        .value_kind:     hidden_group_size_y
      - .offset:         72
        .size:           2
        .value_kind:     hidden_group_size_z
      - .offset:         74
        .size:           2
        .value_kind:     hidden_remainder_x
      - .offset:         76
        .size:           2
        .value_kind:     hidden_remainder_y
      - .offset:         78
        .size:           2
        .value_kind:     hidden_remainder_z
      - .offset:         96
        .size:           8
        .value_kind:     hidden_global_offset_x
      - .offset:         104
        .size:           8
        .value_kind:     hidden_global_offset_y
      - .offset:         112
        .size:           8
        .value_kind:     hidden_global_offset_z
      - .offset:         120
        .size:           2
        .value_kind:     hidden_grid_dims
    .group_segment_fixed_size: 8240
    .kernarg_segment_align: 8
    .kernarg_segment_size: 312
    .language:       OpenCL C
    .language_version:
      - 2
      - 0
    .max_flat_workgroup_size: 1024
    .name:           _Z15mergeSinglePathIdLb0ELb0EEvPKT_jS2_jPKjPS0_j
    .private_segment_fixed_size: 0
    .sgpr_count:     20
    .sgpr_spill_count: 0
    .symbol:         _Z15mergeSinglePathIdLb0ELb0EEvPKT_jS2_jPKjPS0_j.kd
    .uniform_work_group_size: 1
    .uses_dynamic_stack: false
    .vgpr_count:     42
    .vgpr_spill_count: 0
    .wavefront_size: 32
    .workgroup_processor_mode: 1
amdhsa.target:   amdgcn-amd-amdhsa--gfx1030
amdhsa.version:
  - 1
  - 2
...

	.end_amdgpu_metadata
